;; amdgpu-corpus repo=ROCm/rocFFT kind=compiled arch=gfx1030 opt=O3
	.text
	.amdgcn_target "amdgcn-amd-amdhsa--gfx1030"
	.amdhsa_code_object_version 6
	.protected	fft_rtc_fwd_len3240_factors_3_3_10_6_6_wgs_108_tpt_108_halfLds_dp_op_CI_CI_sbrr_dirReg ; -- Begin function fft_rtc_fwd_len3240_factors_3_3_10_6_6_wgs_108_tpt_108_halfLds_dp_op_CI_CI_sbrr_dirReg
	.globl	fft_rtc_fwd_len3240_factors_3_3_10_6_6_wgs_108_tpt_108_halfLds_dp_op_CI_CI_sbrr_dirReg
	.p2align	8
	.type	fft_rtc_fwd_len3240_factors_3_3_10_6_6_wgs_108_tpt_108_halfLds_dp_op_CI_CI_sbrr_dirReg,@function
fft_rtc_fwd_len3240_factors_3_3_10_6_6_wgs_108_tpt_108_halfLds_dp_op_CI_CI_sbrr_dirReg: ; @fft_rtc_fwd_len3240_factors_3_3_10_6_6_wgs_108_tpt_108_halfLds_dp_op_CI_CI_sbrr_dirReg
; %bb.0:
	s_clause 0x2
	s_load_dwordx4 s[16:19], s[4:5], 0x18
	s_load_dwordx4 s[12:15], s[4:5], 0x0
	;; [unrolled: 1-line block ×3, first 2 shown]
	v_mul_u32_u24_e32 v2, 0x25f, v0
	v_mov_b32_e32 v1, 0
	v_mov_b32_e32 v4, 0
	;; [unrolled: 1-line block ×3, first 2 shown]
	s_waitcnt lgkmcnt(0)
	s_load_dwordx2 s[20:21], s[16:17], 0x0
	s_load_dwordx2 s[2:3], s[18:19], 0x0
	v_cmp_lt_u64_e64 s0, s[14:15], 2
	v_add_nc_u32_sdwa v6, s6, v2 dst_sel:DWORD dst_unused:UNUSED_PAD src0_sel:DWORD src1_sel:WORD_1
	v_mov_b32_e32 v7, v1
	s_and_b32 vcc_lo, exec_lo, s0
	s_cbranch_vccnz .LBB0_8
; %bb.1:
	s_load_dwordx2 s[0:1], s[4:5], 0x10
	v_mov_b32_e32 v4, 0
	v_mov_b32_e32 v5, 0
	s_add_u32 s6, s18, 8
	s_addc_u32 s7, s19, 0
	s_add_u32 s22, s16, 8
	s_addc_u32 s23, s17, 0
	v_mov_b32_e32 v121, v5
	v_mov_b32_e32 v120, v4
	s_mov_b64 s[26:27], 1
	s_waitcnt lgkmcnt(0)
	s_add_u32 s24, s0, 8
	s_addc_u32 s25, s1, 0
.LBB0_2:                                ; =>This Inner Loop Header: Depth=1
	s_load_dwordx2 s[28:29], s[24:25], 0x0
                                        ; implicit-def: $vgpr122_vgpr123
	s_mov_b32 s0, exec_lo
	s_waitcnt lgkmcnt(0)
	v_or_b32_e32 v2, s29, v7
	v_cmpx_ne_u64_e32 0, v[1:2]
	s_xor_b32 s1, exec_lo, s0
	s_cbranch_execz .LBB0_4
; %bb.3:                                ;   in Loop: Header=BB0_2 Depth=1
	v_cvt_f32_u32_e32 v2, s28
	v_cvt_f32_u32_e32 v3, s29
	s_sub_u32 s0, 0, s28
	s_subb_u32 s30, 0, s29
	v_fmac_f32_e32 v2, 0x4f800000, v3
	v_rcp_f32_e32 v2, v2
	v_mul_f32_e32 v2, 0x5f7ffffc, v2
	v_mul_f32_e32 v3, 0x2f800000, v2
	v_trunc_f32_e32 v3, v3
	v_fmac_f32_e32 v2, 0xcf800000, v3
	v_cvt_u32_f32_e32 v3, v3
	v_cvt_u32_f32_e32 v2, v2
	v_mul_lo_u32 v8, s0, v3
	v_mul_hi_u32 v9, s0, v2
	v_mul_lo_u32 v10, s30, v2
	v_add_nc_u32_e32 v8, v9, v8
	v_mul_lo_u32 v9, s0, v2
	v_add_nc_u32_e32 v8, v8, v10
	v_mul_hi_u32 v10, v2, v9
	v_mul_lo_u32 v11, v2, v8
	v_mul_hi_u32 v12, v2, v8
	v_mul_hi_u32 v13, v3, v9
	v_mul_lo_u32 v9, v3, v9
	v_mul_hi_u32 v14, v3, v8
	v_mul_lo_u32 v8, v3, v8
	v_add_co_u32 v10, vcc_lo, v10, v11
	v_add_co_ci_u32_e32 v11, vcc_lo, 0, v12, vcc_lo
	v_add_co_u32 v9, vcc_lo, v10, v9
	v_add_co_ci_u32_e32 v9, vcc_lo, v11, v13, vcc_lo
	v_add_co_ci_u32_e32 v10, vcc_lo, 0, v14, vcc_lo
	v_add_co_u32 v8, vcc_lo, v9, v8
	v_add_co_ci_u32_e32 v9, vcc_lo, 0, v10, vcc_lo
	v_add_co_u32 v2, vcc_lo, v2, v8
	v_add_co_ci_u32_e32 v3, vcc_lo, v3, v9, vcc_lo
	v_mul_hi_u32 v8, s0, v2
	v_mul_lo_u32 v10, s30, v2
	v_mul_lo_u32 v9, s0, v3
	v_add_nc_u32_e32 v8, v8, v9
	v_mul_lo_u32 v9, s0, v2
	v_add_nc_u32_e32 v8, v8, v10
	v_mul_hi_u32 v10, v2, v9
	v_mul_lo_u32 v11, v2, v8
	v_mul_hi_u32 v12, v2, v8
	v_mul_hi_u32 v13, v3, v9
	v_mul_lo_u32 v9, v3, v9
	v_mul_hi_u32 v14, v3, v8
	v_mul_lo_u32 v8, v3, v8
	v_add_co_u32 v10, vcc_lo, v10, v11
	v_add_co_ci_u32_e32 v11, vcc_lo, 0, v12, vcc_lo
	v_add_co_u32 v9, vcc_lo, v10, v9
	v_add_co_ci_u32_e32 v9, vcc_lo, v11, v13, vcc_lo
	v_add_co_ci_u32_e32 v10, vcc_lo, 0, v14, vcc_lo
	v_add_co_u32 v8, vcc_lo, v9, v8
	v_add_co_ci_u32_e32 v9, vcc_lo, 0, v10, vcc_lo
	v_add_co_u32 v8, vcc_lo, v2, v8
	v_add_co_ci_u32_e32 v10, vcc_lo, v3, v9, vcc_lo
	v_mul_hi_u32 v12, v6, v8
	v_mad_u64_u32 v[8:9], null, v7, v8, 0
	v_mad_u64_u32 v[2:3], null, v6, v10, 0
	v_mad_u64_u32 v[10:11], null, v7, v10, 0
	v_add_co_u32 v2, vcc_lo, v12, v2
	v_add_co_ci_u32_e32 v3, vcc_lo, 0, v3, vcc_lo
	v_add_co_u32 v2, vcc_lo, v2, v8
	v_add_co_ci_u32_e32 v2, vcc_lo, v3, v9, vcc_lo
	v_add_co_ci_u32_e32 v3, vcc_lo, 0, v11, vcc_lo
	v_add_co_u32 v8, vcc_lo, v2, v10
	v_add_co_ci_u32_e32 v9, vcc_lo, 0, v3, vcc_lo
	v_mul_lo_u32 v10, s29, v8
	v_mad_u64_u32 v[2:3], null, s28, v8, 0
	v_mul_lo_u32 v11, s28, v9
	v_sub_co_u32 v2, vcc_lo, v6, v2
	v_add3_u32 v3, v3, v11, v10
	v_sub_nc_u32_e32 v10, v7, v3
	v_subrev_co_ci_u32_e64 v10, s0, s29, v10, vcc_lo
	v_add_co_u32 v11, s0, v8, 2
	v_add_co_ci_u32_e64 v12, s0, 0, v9, s0
	v_sub_co_u32 v13, s0, v2, s28
	v_sub_co_ci_u32_e32 v3, vcc_lo, v7, v3, vcc_lo
	v_subrev_co_ci_u32_e64 v10, s0, 0, v10, s0
	v_cmp_le_u32_e32 vcc_lo, s28, v13
	v_cmp_eq_u32_e64 s0, s29, v3
	v_cndmask_b32_e64 v13, 0, -1, vcc_lo
	v_cmp_le_u32_e32 vcc_lo, s29, v10
	v_cndmask_b32_e64 v14, 0, -1, vcc_lo
	v_cmp_le_u32_e32 vcc_lo, s28, v2
	;; [unrolled: 2-line block ×3, first 2 shown]
	v_cndmask_b32_e64 v15, 0, -1, vcc_lo
	v_cmp_eq_u32_e32 vcc_lo, s29, v10
	v_cndmask_b32_e64 v2, v15, v2, s0
	v_cndmask_b32_e32 v10, v14, v13, vcc_lo
	v_add_co_u32 v13, vcc_lo, v8, 1
	v_add_co_ci_u32_e32 v14, vcc_lo, 0, v9, vcc_lo
	v_cmp_ne_u32_e32 vcc_lo, 0, v10
	v_cndmask_b32_e32 v3, v14, v12, vcc_lo
	v_cndmask_b32_e32 v10, v13, v11, vcc_lo
	v_cmp_ne_u32_e32 vcc_lo, 0, v2
	v_cndmask_b32_e32 v123, v9, v3, vcc_lo
	v_cndmask_b32_e32 v122, v8, v10, vcc_lo
.LBB0_4:                                ;   in Loop: Header=BB0_2 Depth=1
	s_andn2_saveexec_b32 s0, s1
	s_cbranch_execz .LBB0_6
; %bb.5:                                ;   in Loop: Header=BB0_2 Depth=1
	v_cvt_f32_u32_e32 v2, s28
	s_sub_i32 s1, 0, s28
	v_mov_b32_e32 v123, v1
	v_rcp_iflag_f32_e32 v2, v2
	v_mul_f32_e32 v2, 0x4f7ffffe, v2
	v_cvt_u32_f32_e32 v2, v2
	v_mul_lo_u32 v3, s1, v2
	v_mul_hi_u32 v3, v2, v3
	v_add_nc_u32_e32 v2, v2, v3
	v_mul_hi_u32 v2, v6, v2
	v_mul_lo_u32 v3, v2, s28
	v_add_nc_u32_e32 v8, 1, v2
	v_sub_nc_u32_e32 v3, v6, v3
	v_subrev_nc_u32_e32 v9, s28, v3
	v_cmp_le_u32_e32 vcc_lo, s28, v3
	v_cndmask_b32_e32 v3, v3, v9, vcc_lo
	v_cndmask_b32_e32 v2, v2, v8, vcc_lo
	v_cmp_le_u32_e32 vcc_lo, s28, v3
	v_add_nc_u32_e32 v8, 1, v2
	v_cndmask_b32_e32 v122, v2, v8, vcc_lo
.LBB0_6:                                ;   in Loop: Header=BB0_2 Depth=1
	s_or_b32 exec_lo, exec_lo, s0
	v_mul_lo_u32 v8, v123, s28
	v_mul_lo_u32 v9, v122, s29
	s_load_dwordx2 s[0:1], s[22:23], 0x0
	v_mad_u64_u32 v[2:3], null, v122, s28, 0
	s_load_dwordx2 s[28:29], s[6:7], 0x0
	s_add_u32 s26, s26, 1
	s_addc_u32 s27, s27, 0
	s_add_u32 s6, s6, 8
	s_addc_u32 s7, s7, 0
	s_add_u32 s22, s22, 8
	v_add3_u32 v3, v3, v9, v8
	v_sub_co_u32 v2, vcc_lo, v6, v2
	s_addc_u32 s23, s23, 0
	s_add_u32 s24, s24, 8
	v_sub_co_ci_u32_e32 v3, vcc_lo, v7, v3, vcc_lo
	s_addc_u32 s25, s25, 0
	s_waitcnt lgkmcnt(0)
	v_mul_lo_u32 v6, s0, v3
	v_mul_lo_u32 v7, s1, v2
	v_mad_u64_u32 v[4:5], null, s0, v2, v[4:5]
	v_mul_lo_u32 v3, s28, v3
	v_mul_lo_u32 v8, s29, v2
	v_mad_u64_u32 v[120:121], null, s28, v2, v[120:121]
	v_cmp_ge_u64_e64 s0, s[26:27], s[14:15]
	v_add3_u32 v5, v7, v5, v6
	v_add3_u32 v121, v8, v121, v3
	s_and_b32 vcc_lo, exec_lo, s0
	s_cbranch_vccnz .LBB0_9
; %bb.7:                                ;   in Loop: Header=BB0_2 Depth=1
	v_mov_b32_e32 v6, v122
	v_mov_b32_e32 v7, v123
	s_branch .LBB0_2
.LBB0_8:
	v_mov_b32_e32 v121, v5
	v_mov_b32_e32 v123, v7
	;; [unrolled: 1-line block ×4, first 2 shown]
.LBB0_9:
	s_load_dwordx2 s[0:1], s[4:5], 0x28
	v_mul_hi_u32 v1, 0x25ed098, v0
	s_lshl_b64 s[4:5], s[14:15], 3
                                        ; implicit-def: $vgpr174
                                        ; implicit-def: $vgpr175
                                        ; implicit-def: $vgpr176
                                        ; implicit-def: $vgpr177
                                        ; implicit-def: $vgpr178
                                        ; implicit-def: $vgpr125
                                        ; implicit-def: $vgpr124
                                        ; implicit-def: $vgpr127
                                        ; implicit-def: $vgpr126
                                        ; implicit-def: $vgpr128
	s_add_u32 s14, s18, s4
	s_addc_u32 s15, s19, s5
	s_waitcnt lgkmcnt(0)
	v_cmp_gt_u64_e32 vcc_lo, s[0:1], v[122:123]
	v_cmp_le_u64_e64 s0, s[0:1], v[122:123]
	s_and_saveexec_b32 s1, s0
	s_xor_b32 s0, exec_lo, s1
; %bb.10:
	v_mul_u32_u24_e32 v1, 0x6c, v1
                                        ; implicit-def: $vgpr4_vgpr5
	v_sub_nc_u32_e32 v174, v0, v1
                                        ; implicit-def: $vgpr1
                                        ; implicit-def: $vgpr0
	v_add_nc_u32_e32 v175, 0x6c, v174
	v_add_nc_u32_e32 v176, 0xd8, v174
	;; [unrolled: 1-line block ×9, first 2 shown]
; %bb.11:
	s_or_saveexec_b32 s1, s0
                                        ; implicit-def: $vgpr6_vgpr7
                                        ; implicit-def: $vgpr2_vgpr3
                                        ; implicit-def: $vgpr10_vgpr11
                                        ; implicit-def: $vgpr18_vgpr19
                                        ; implicit-def: $vgpr14_vgpr15
                                        ; implicit-def: $vgpr22_vgpr23
                                        ; implicit-def: $vgpr30_vgpr31
                                        ; implicit-def: $vgpr26_vgpr27
                                        ; implicit-def: $vgpr34_vgpr35
                                        ; implicit-def: $vgpr46_vgpr47
                                        ; implicit-def: $vgpr42_vgpr43
                                        ; implicit-def: $vgpr38_vgpr39
                                        ; implicit-def: $vgpr54_vgpr55
                                        ; implicit-def: $vgpr58_vgpr59
                                        ; implicit-def: $vgpr50_vgpr51
                                        ; implicit-def: $vgpr66_vgpr67
                                        ; implicit-def: $vgpr62_vgpr63
                                        ; implicit-def: $vgpr70_vgpr71
                                        ; implicit-def: $vgpr82_vgpr83
                                        ; implicit-def: $vgpr78_vgpr79
                                        ; implicit-def: $vgpr74_vgpr75
                                        ; implicit-def: $vgpr90_vgpr91
                                        ; implicit-def: $vgpr94_vgpr95
                                        ; implicit-def: $vgpr86_vgpr87
                                        ; implicit-def: $vgpr102_vgpr103
                                        ; implicit-def: $vgpr114_vgpr115
                                        ; implicit-def: $vgpr98_vgpr99
                                        ; implicit-def: $vgpr110_vgpr111
                                        ; implicit-def: $vgpr118_vgpr119
                                        ; implicit-def: $vgpr106_vgpr107
	s_xor_b32 exec_lo, exec_lo, s1
	s_cbranch_execz .LBB0_13
; %bb.12:
	s_add_u32 s4, s16, s4
	s_addc_u32 s5, s17, s5
	v_mul_u32_u24_e32 v1, 0x6c, v1
	s_load_dwordx2 s[4:5], s[4:5], 0x0
	v_lshlrev_b64 v[2:3], 4, v[4:5]
	v_sub_nc_u32_e32 v174, v0, v1
	v_add_nc_u32_e32 v13, 0x438, v174
	v_add_nc_u32_e32 v16, 0x870, v174
	v_mad_u64_u32 v[0:1], null, s20, v174, 0
	v_add_nc_u32_e32 v175, 0x6c, v174
	v_mad_u64_u32 v[4:5], null, s20, v13, 0
	v_mad_u64_u32 v[6:7], null, s20, v16, 0
	v_add_nc_u32_e32 v18, 0x4a4, v174
	v_mad_u64_u32 v[10:11], null, s21, v174, v[1:2]
	s_waitcnt lgkmcnt(0)
	v_mul_lo_u32 v14, s5, v122
	v_mul_lo_u32 v15, s4, v123
	v_mad_u64_u32 v[8:9], null, s4, v122, 0
	v_mov_b32_e32 v1, v5
	v_mad_u64_u32 v[11:12], null, s20, v175, 0
	v_mov_b32_e32 v5, v7
	v_add_nc_u32_e32 v176, 0xd8, v174
	v_add_nc_u32_e32 v22, 0x510, v174
	v_add3_u32 v9, v9, v15, v14
	v_mad_u64_u32 v[13:14], null, s21, v13, v[1:2]
	v_mov_b32_e32 v1, v10
	v_mad_u64_u32 v[14:15], null, s20, v18, 0
	v_lshlrev_b64 v[7:8], 4, v[8:9]
	v_mad_u64_u32 v[9:10], null, s21, v16, v[5:6]
	v_mov_b32_e32 v10, v12
	v_mov_b32_e32 v5, v13
	v_lshlrev_b64 v[0:1], 4, v[0:1]
	v_add_co_u32 v12, s0, s8, v7
	v_add_co_ci_u32_e64 v8, s0, s9, v8, s0
	v_mov_b32_e32 v7, v9
	v_add_co_u32 v20, s0, v12, v2
	v_add_co_ci_u32_e64 v21, s0, v8, v3, s0
	v_lshlrev_b64 v[2:3], 4, v[4:5]
	v_mad_u64_u32 v[4:5], null, s21, v175, v[10:11]
	v_add_nc_u32_e32 v10, 0x8dc, v174
	v_lshlrev_b64 v[5:6], 4, v[6:7]
	v_mov_b32_e32 v7, v15
	v_add_co_u32 v0, s0, v20, v0
	v_mad_u64_u32 v[16:17], null, s20, v10, 0
	v_add_co_ci_u32_e64 v1, s0, v21, v1, s0
	v_mov_b32_e32 v12, v4
	v_mad_u64_u32 v[7:8], null, s21, v18, v[7:8]
	v_add_co_u32 v2, s0, v20, v2
	v_add_co_ci_u32_e64 v3, s0, v21, v3, s0
	v_add_co_u32 v4, s0, v20, v5
	v_lshlrev_b64 v[8:9], 4, v[11:12]
	v_add_co_ci_u32_e64 v5, s0, v21, v6, s0
	v_mov_b32_e32 v6, v17
	v_mad_u64_u32 v[12:13], null, s20, v176, 0
	v_mov_b32_e32 v15, v7
	v_add_nc_u32_e32 v24, 0x948, v174
	v_mad_u64_u32 v[10:11], null, s21, v10, v[6:7]
	v_add_co_u32 v6, s0, v20, v8
	v_add_co_ci_u32_e64 v7, s0, v21, v9, s0
	v_lshlrev_b64 v[8:9], 4, v[14:15]
	v_mad_u64_u32 v[14:15], null, s20, v22, 0
	v_mov_b32_e32 v11, v13
	v_mov_b32_e32 v17, v10
	v_mad_u64_u32 v[18:19], null, s20, v24, 0
	v_add_co_u32 v8, s0, v20, v8
	v_mad_u64_u32 v[10:11], null, s21, v176, v[11:12]
	v_mov_b32_e32 v11, v15
	v_lshlrev_b64 v[16:17], 4, v[16:17]
	v_add_co_ci_u32_e64 v9, s0, v21, v9, s0
	v_add_nc_u32_e32 v177, 0x144, v174
	v_mad_u64_u32 v[22:23], null, s21, v22, v[11:12]
	v_mov_b32_e32 v13, v10
	v_add_co_u32 v10, s0, v20, v16
	v_mov_b32_e32 v16, v19
	v_add_co_ci_u32_e64 v11, s0, v21, v17, s0
	v_mov_b32_e32 v15, v22
	v_mad_u64_u32 v[22:23], null, s20, v177, 0
	v_mad_u64_u32 v[16:17], null, s21, v24, v[16:17]
	v_add_nc_u32_e32 v28, 0x57c, v174
	v_lshlrev_b64 v[12:13], 4, v[12:13]
	v_add_nc_u32_e32 v30, 0x9b4, v174
	v_lshlrev_b64 v[14:15], 4, v[14:15]
	v_mov_b32_e32 v17, v23
	v_mad_u64_u32 v[24:25], null, s20, v28, 0
	v_mov_b32_e32 v19, v16
	v_add_co_u32 v12, s0, v20, v12
	v_mad_u64_u32 v[16:17], null, s21, v177, v[17:18]
	v_lshlrev_b64 v[17:18], 4, v[18:19]
	v_mov_b32_e32 v19, v25
	v_mad_u64_u32 v[26:27], null, s20, v30, 0
	v_add_nc_u32_e32 v178, 0x1b0, v174
	v_add_co_ci_u32_e64 v13, s0, v21, v13, s0
	v_mad_u64_u32 v[28:29], null, s21, v28, v[19:20]
	v_add_co_u32 v14, s0, v20, v14
	v_mov_b32_e32 v23, v16
	v_add_co_ci_u32_e64 v15, s0, v21, v15, s0
	v_add_co_u32 v16, s0, v20, v17
	v_mov_b32_e32 v25, v28
	v_mad_u64_u32 v[28:29], null, s20, v178, 0
	v_add_co_ci_u32_e64 v17, s0, v21, v18, s0
	v_lshlrev_b64 v[18:19], 4, v[22:23]
	v_mov_b32_e32 v22, v27
	v_add_nc_u32_e32 v34, 0x5e8, v174
	v_add_nc_u32_e32 v36, 0xa20, v174
	v_add_nc_u32_e32 v125, 0x21c, v174
	v_add_nc_u32_e32 v40, 0x654, v174
	v_mad_u64_u32 v[22:23], null, s21, v30, v[22:23]
	v_lshlrev_b64 v[23:24], 4, v[24:25]
	v_mov_b32_e32 v25, v29
	v_mad_u64_u32 v[30:31], null, s20, v34, 0
	v_add_co_u32 v18, s0, v20, v18
	v_mad_u64_u32 v[32:33], null, s21, v178, v[25:26]
	v_mov_b32_e32 v27, v22
	v_add_co_ci_u32_e64 v19, s0, v21, v19, s0
	v_add_co_u32 v22, s0, v20, v23
	v_add_co_ci_u32_e64 v23, s0, v21, v24, s0
	v_mov_b32_e32 v29, v32
	v_mad_u64_u32 v[32:33], null, s20, v36, 0
	v_lshlrev_b64 v[24:25], 4, v[26:27]
	v_mov_b32_e32 v26, v31
	v_add_nc_u32_e32 v42, 0xa8c, v174
	v_add_nc_u32_e32 v124, 0x288, v174
	;; [unrolled: 1-line block ×4, first 2 shown]
	v_mad_u64_u32 v[26:27], null, s21, v34, v[26:27]
	v_lshlrev_b64 v[27:28], 4, v[28:29]
	v_mov_b32_e32 v29, v33
	v_mad_u64_u32 v[34:35], null, s20, v125, 0
	v_add_co_u32 v24, s0, v20, v24
	v_mad_u64_u32 v[36:37], null, s21, v36, v[29:30]
	v_mov_b32_e32 v31, v26
	v_add_co_ci_u32_e64 v25, s0, v21, v25, s0
	v_add_co_u32 v26, s0, v20, v27
	v_add_co_ci_u32_e64 v27, s0, v21, v28, s0
	v_mov_b32_e32 v33, v36
	v_mad_u64_u32 v[36:37], null, s20, v40, 0
	v_lshlrev_b64 v[28:29], 4, v[30:31]
	v_mov_b32_e32 v30, v35
	v_mad_u64_u32 v[38:39], null, s20, v42, 0
	v_add_nc_u32_e32 v127, 0x2f4, v174
	v_add_nc_u32_e32 v52, 0x72c, v174
	v_mad_u64_u32 v[30:31], null, s21, v125, v[30:31]
	v_lshlrev_b64 v[31:32], 4, v[32:33]
	v_mov_b32_e32 v33, v37
	v_add_co_u32 v28, s0, v20, v28
	v_add_co_ci_u32_e64 v29, s0, v21, v29, s0
	v_mad_u64_u32 v[40:41], null, s21, v40, v[33:34]
	v_mov_b32_e32 v35, v30
	v_add_co_u32 v30, s0, v20, v31
	v_add_co_ci_u32_e64 v31, s0, v21, v32, s0
	v_lshlrev_b64 v[32:33], 4, v[34:35]
	v_mov_b32_e32 v37, v40
	v_mad_u64_u32 v[40:41], null, s20, v124, 0
	v_mov_b32_e32 v34, v39
	v_add_nc_u32_e32 v54, 0xb64, v174
	v_add_co_u32 v32, s0, v20, v32
	v_add_co_ci_u32_e64 v33, s0, v21, v33, s0
	v_mad_u64_u32 v[34:35], null, s21, v42, v[34:35]
	v_lshlrev_b64 v[35:36], 4, v[36:37]
	v_mov_b32_e32 v37, v41
	v_mad_u64_u32 v[42:43], null, s20, v46, 0
	v_mad_u64_u32 v[50:51], null, s20, v54, 0
	;; [unrolled: 1-line block ×3, first 2 shown]
	v_mov_b32_e32 v39, v34
	v_add_co_u32 v34, s0, v20, v35
	v_add_co_ci_u32_e64 v35, s0, v21, v36, s0
	v_lshlrev_b64 v[36:37], 4, v[38:39]
	v_mov_b32_e32 v41, v44
	v_mad_u64_u32 v[44:45], null, s20, v48, 0
	v_mov_b32_e32 v38, v43
	v_add_nc_u32_e32 v126, 0x360, v174
	v_lshlrev_b64 v[40:41], 4, v[40:41]
	v_add_co_u32 v36, s0, v20, v36
	v_mad_u64_u32 v[38:39], null, s21, v46, v[38:39]
	v_mov_b32_e32 v39, v45
	v_mad_u64_u32 v[46:47], null, s20, v127, 0
	v_add_co_ci_u32_e64 v37, s0, v21, v37, s0
	v_mad_u64_u32 v[48:49], null, s21, v48, v[39:40]
	v_mov_b32_e32 v43, v38
	v_add_co_u32 v38, s0, v20, v40
	v_add_co_ci_u32_e64 v39, s0, v21, v41, s0
	v_lshlrev_b64 v[40:41], 4, v[42:43]
	v_mov_b32_e32 v42, v47
	v_mov_b32_e32 v45, v48
	v_mad_u64_u32 v[48:49], null, s20, v52, 0
	v_add_nc_u32_e32 v56, 0x798, v174
	v_mad_u64_u32 v[42:43], null, s21, v127, v[42:43]
	v_lshlrev_b64 v[43:44], 4, v[44:45]
	v_add_co_u32 v40, s0, v20, v40
	v_mov_b32_e32 v45, v49
	v_add_co_ci_u32_e64 v41, s0, v21, v41, s0
	v_mov_b32_e32 v47, v42
	v_mov_b32_e32 v42, v51
	v_mad_u64_u32 v[51:52], null, s21, v52, v[45:46]
	v_mad_u64_u32 v[52:53], null, s20, v126, 0
	;; [unrolled: 1-line block ×3, first 2 shown]
	v_add_co_u32 v129, s0, v20, v43
	v_add_co_ci_u32_e64 v130, s0, v21, v44, s0
	v_mov_b32_e32 v44, v53
	v_lshlrev_b64 v[42:43], 4, v[46:47]
	v_mov_b32_e32 v49, v51
	v_mov_b32_e32 v51, v54
	v_add_nc_u32_e32 v57, 0xbd0, v174
	v_mad_u64_u32 v[44:45], null, s21, v126, v[44:45]
	v_add_co_u32 v131, s0, v20, v42
	v_mad_u64_u32 v[45:46], null, s20, v56, 0
	v_add_co_ci_u32_e64 v132, s0, v21, v43, s0
	v_lshlrev_b64 v[42:43], 4, v[48:49]
	v_lshlrev_b64 v[47:48], 4, v[50:51]
	v_mad_u64_u32 v[54:55], null, s20, v57, 0
	v_mov_b32_e32 v53, v44
	v_add_nc_u32_e32 v128, 0x3cc, v174
	v_add_co_u32 v133, s0, v20, v42
	v_mad_u64_u32 v[50:51], null, s21, v56, v[46:47]
	v_add_co_ci_u32_e64 v134, s0, v21, v43, s0
	v_lshlrev_b64 v[42:43], 4, v[52:53]
	v_mad_u64_u32 v[51:52], null, s20, v128, 0
	v_mov_b32_e32 v49, v55
	v_add_nc_u32_e32 v58, 0x804, v174
	v_add_nc_u32_e32 v53, 0xc3c, v174
	v_add_co_u32 v135, s0, v20, v47
	v_mad_u64_u32 v[55:56], null, s21, v57, v[49:50]
	v_mad_u64_u32 v[56:57], null, s20, v58, 0
	v_mov_b32_e32 v44, v52
	v_add_co_ci_u32_e64 v136, s0, v21, v48, s0
	v_mov_b32_e32 v46, v50
	v_add_co_u32 v137, s0, v20, v42
	v_mad_u64_u32 v[48:49], null, s21, v128, v[44:45]
	v_mad_u64_u32 v[49:50], null, s20, v53, 0
	v_mov_b32_e32 v47, v57
	v_add_co_ci_u32_e64 v138, s0, v21, v43, s0
	v_lshlrev_b64 v[42:43], 4, v[45:46]
	v_mov_b32_e32 v52, v48
	v_mad_u64_u32 v[46:47], null, s21, v58, v[47:48]
	v_mov_b32_e32 v47, v50
	v_lshlrev_b64 v[44:45], 4, v[54:55]
	v_add_co_u32 v139, s0, v20, v42
	v_add_co_ci_u32_e64 v140, s0, v21, v43, s0
	v_mad_u64_u32 v[42:43], null, s21, v53, v[47:48]
	v_mov_b32_e32 v57, v46
	v_lshlrev_b64 v[46:47], 4, v[51:52]
	v_add_co_u32 v141, s0, v20, v44
	v_add_co_ci_u32_e64 v142, s0, v21, v45, s0
	v_mov_b32_e32 v50, v42
	v_lshlrev_b64 v[43:44], 4, v[56:57]
	v_add_co_u32 v143, s0, v20, v46
	v_add_co_ci_u32_e64 v144, s0, v21, v47, s0
	v_lshlrev_b64 v[45:46], 4, v[49:50]
	v_add_co_u32 v145, s0, v20, v43
	v_add_co_ci_u32_e64 v146, s0, v21, v44, s0
	v_add_co_u32 v147, s0, v20, v45
	v_add_co_ci_u32_e64 v148, s0, v21, v46, s0
	s_clause 0x1d
	global_load_dwordx4 v[104:107], v[0:1], off
	global_load_dwordx4 v[116:119], v[2:3], off
	global_load_dwordx4 v[108:111], v[4:5], off
	global_load_dwordx4 v[96:99], v[6:7], off
	global_load_dwordx4 v[112:115], v[8:9], off
	global_load_dwordx4 v[100:103], v[10:11], off
	global_load_dwordx4 v[84:87], v[12:13], off
	global_load_dwordx4 v[92:95], v[14:15], off
	global_load_dwordx4 v[88:91], v[16:17], off
	global_load_dwordx4 v[72:75], v[18:19], off
	global_load_dwordx4 v[76:79], v[22:23], off
	global_load_dwordx4 v[80:83], v[24:25], off
	global_load_dwordx4 v[68:71], v[26:27], off
	global_load_dwordx4 v[60:63], v[28:29], off
	global_load_dwordx4 v[64:67], v[30:31], off
	global_load_dwordx4 v[48:51], v[32:33], off
	global_load_dwordx4 v[56:59], v[34:35], off
	global_load_dwordx4 v[52:55], v[36:37], off
	global_load_dwordx4 v[36:39], v[38:39], off
	global_load_dwordx4 v[40:43], v[40:41], off
	global_load_dwordx4 v[44:47], v[129:130], off
	global_load_dwordx4 v[32:35], v[131:132], off
	global_load_dwordx4 v[24:27], v[133:134], off
	global_load_dwordx4 v[28:31], v[135:136], off
	global_load_dwordx4 v[20:23], v[137:138], off
	global_load_dwordx4 v[12:15], v[139:140], off
	global_load_dwordx4 v[16:19], v[141:142], off
	global_load_dwordx4 v[8:11], v[143:144], off
	global_load_dwordx4 v[0:3], v[145:146], off
	global_load_dwordx4 v[4:7], v[147:148], off
.LBB0_13:
	s_or_b32 exec_lo, exec_lo, s1
	s_waitcnt vmcnt(28)
	v_add_f64 v[131:132], v[118:119], v[106:107]
	s_waitcnt vmcnt(27)
	v_add_f64 v[135:136], v[110:111], v[118:119]
	;; [unrolled: 2-line block ×4, first 2 shown]
	v_add_f64 v[129:130], v[116:117], v[104:105]
	v_add_f64 v[133:134], v[108:109], v[116:117]
	;; [unrolled: 1-line block ×5, first 2 shown]
	s_waitcnt vmcnt(21)
	v_add_f64 v[151:152], v[90:91], v[94:95]
	s_waitcnt vmcnt(19)
	v_add_f64 v[153:154], v[76:77], v[72:73]
	v_add_f64 v[155:156], v[78:79], v[74:75]
	v_add_f64 v[118:119], v[118:119], -v[110:111]
	v_add_f64 v[147:148], v[94:95], v[86:87]
	v_add_f64 v[149:150], v[88:89], v[92:93]
	v_add_f64 v[112:113], v[112:113], -v[100:101]
	v_add_f64 v[116:117], v[116:117], -v[108:109]
	;; [unrolled: 1-line block ×4, first 2 shown]
	s_mov_b32 s4, 0xe8584caa
	s_mov_b32 s5, 0x3febb67a
	;; [unrolled: 1-line block ×3, first 2 shown]
	v_add_f64 v[110:111], v[110:111], v[131:132]
	s_waitcnt vmcnt(18)
	v_add_f64 v[131:132], v[82:83], v[78:79]
	v_fma_f64 v[106:107], v[135:136], -0.5, v[106:107]
	v_add_f64 v[100:101], v[100:101], v[137:138]
	s_waitcnt vmcnt(15)
	v_add_f64 v[135:136], v[66:67], v[62:63]
	v_add_f64 v[137:138], v[88:89], v[145:146]
	v_add_f64 v[88:89], v[92:93], -v[88:89]
	v_add_f64 v[92:93], v[62:63], v[70:71]
	v_add_f64 v[108:109], v[108:109], v[129:130]
	v_fma_f64 v[104:105], v[133:134], -0.5, v[104:105]
	v_add_f64 v[102:103], v[102:103], v[139:140]
	v_fma_f64 v[96:97], v[141:142], -0.5, v[96:97]
	v_add_f64 v[129:130], v[80:81], v[76:77]
	v_add_f64 v[133:134], v[64:65], v[60:61]
	v_fma_f64 v[98:99], v[143:144], -0.5, v[98:99]
	v_add_f64 v[139:140], v[60:61], v[68:69]
	v_fma_f64 v[141:142], v[151:152], -0.5, v[86:87]
	s_waitcnt vmcnt(13)
	v_add_f64 v[86:87], v[56:57], v[48:49]
	v_add_f64 v[143:144], v[80:81], v[153:154]
	v_add_f64 v[76:77], v[76:77], -v[80:81]
	v_add_f64 v[80:81], v[58:59], v[50:51]
	v_add_f64 v[145:146], v[78:79], -v[82:83]
	v_add_f64 v[78:79], v[82:83], v[155:156]
	s_waitcnt vmcnt(12)
	v_add_f64 v[82:83], v[52:53], v[56:57]
	v_fma_f64 v[74:75], v[131:132], -0.5, v[74:75]
	s_waitcnt vmcnt(9)
	v_add_f64 v[131:132], v[44:45], v[40:41]
	v_add_f64 v[90:91], v[90:91], v[147:148]
	;; [unrolled: 1-line block ×3, first 2 shown]
	v_fma_f64 v[70:71], v[135:136], -0.5, v[70:71]
	v_add_f64 v[135:136], v[46:47], v[42:43]
	v_add_f64 v[62:63], v[62:63], -v[66:67]
	v_add_f64 v[66:67], v[66:67], v[92:93]
	s_waitcnt vmcnt(7)
	v_add_f64 v[92:93], v[26:27], v[34:35]
	s_waitcnt vmcnt(6)
	v_add_f64 v[151:152], v[30:31], v[26:27]
	v_add_f64 v[58:59], v[58:59], -v[54:55]
	v_fma_f64 v[68:69], v[133:134], -0.5, v[68:69]
	v_fma_f64 v[84:85], v[149:150], -0.5, v[84:85]
	v_add_f64 v[133:134], v[64:65], v[139:140]
	v_add_f64 v[139:140], v[28:29], v[24:25]
	v_add_f64 v[64:65], v[60:61], -v[64:65]
	v_add_f64 v[60:61], v[52:53], v[86:87]
	v_add_f64 v[86:87], v[24:25], v[32:33]
	;; [unrolled: 1-line block ×3, first 2 shown]
	s_waitcnt vmcnt(3)
	v_add_f64 v[54:55], v[18:19], v[14:15]
	v_add_f64 v[149:150], v[40:41], v[36:37]
	v_fma_f64 v[72:73], v[129:130], -0.5, v[72:73]
	v_add_f64 v[56:57], v[56:57], -v[52:53]
	v_fma_f64 v[48:49], v[82:83], -0.5, v[48:49]
	v_add_f64 v[52:53], v[16:17], v[12:13]
	v_add_f64 v[129:130], v[42:43], v[38:39]
	v_add_f64 v[42:43], v[42:43], -v[46:47]
	v_fma_f64 v[36:37], v[131:132], -0.5, v[36:37]
	v_fma_f64 v[82:83], v[147:148], -0.5, v[50:51]
	v_add_f64 v[147:148], v[40:41], -v[44:45]
	s_waitcnt vmcnt(0)
	v_add_f64 v[40:41], v[4:5], v[0:1]
	s_mov_b32 s6, s4
	v_fma_f64 v[131:132], v[135:136], -0.5, v[38:39]
	v_add_f64 v[26:27], v[26:27], -v[30:31]
	v_add_f64 v[92:93], v[30:31], v[92:93]
	v_fma_f64 v[30:31], v[118:119], s[4:5], v[104:105]
	v_fma_f64 v[38:39], v[118:119], s[6:7], v[104:105]
	v_fma_f64 v[32:33], v[139:140], -0.5, v[32:33]
	v_fma_f64 v[135:136], v[151:152], -0.5, v[34:35]
	v_add_f64 v[34:35], v[28:29], v[86:87]
	v_add_f64 v[139:140], v[24:25], -v[28:29]
	v_add_f64 v[28:29], v[14:15], v[22:23]
	v_fma_f64 v[104:105], v[54:55], -0.5, v[22:23]
	v_fma_f64 v[22:23], v[114:115], s[4:5], v[96:97]
	v_add_f64 v[50:51], v[44:45], v[149:150]
	v_add_f64 v[24:25], v[12:13], v[20:21]
	v_fma_f64 v[20:21], v[52:53], -0.5, v[20:21]
	v_add_f64 v[14:15], v[14:15], -v[18:19]
	v_fma_f64 v[44:45], v[114:115], s[6:7], v[96:97]
	v_fma_f64 v[54:55], v[94:95], s[4:5], v[84:85]
	;; [unrolled: 1-line block ×10, first 2 shown]
	v_add_f64 v[129:130], v[46:47], v[129:130]
	v_add_f64 v[46:47], v[0:1], v[8:9]
	v_fma_f64 v[8:9], v[40:41], -0.5, v[8:9]
	v_add_f64 v[40:41], v[6:7], v[2:3]
	v_add_f64 v[52:53], v[2:3], -v[6:7]
	v_fma_f64 v[36:37], v[42:43], s[6:7], v[36:37]
	v_add_f64 v[2:3], v[2:3], v[10:11]
	v_mad_u32_u24 v151, v174, 24, 0
	v_mad_i32_i24 v152, v175, 24, 0
	v_mad_i32_i24 v153, v176, 24, 0
	v_mad_i32_i24 v179, v177, 24, 0
	v_mad_i32_i24 v180, v178, 24, 0
	v_mad_i32_i24 v181, v125, 24, 0
	s_load_dwordx2 s[8:9], s[14:15], 0x0
	ds_write2_b64 v151, v[108:109], v[30:31] offset1:1
	ds_write_b64 v151, v[38:39] offset:16
	ds_write2_b64 v152, v[100:101], v[22:23] offset1:1
	v_mad_i32_i24 v100, v124, 24, 0
	v_fma_f64 v[42:43], v[26:27], s[4:5], v[32:33]
	v_fma_f64 v[26:27], v[26:27], s[6:7], v[32:33]
	v_add_f64 v[24:25], v[16:17], v[24:25]
	v_add_f64 v[114:115], v[12:13], -v[16:17]
	v_fma_f64 v[12:13], v[14:15], s[4:5], v[20:21]
	ds_write_b64 v152, v[44:45] offset:16
	ds_write2_b64 v153, v[137:138], v[54:55] offset1:1
	ds_write_b64 v153, v[84:85] offset:16
	ds_write2_b64 v179, v[143:144], v[86:87] offset1:1
	ds_write_b64 v179, v[72:73] offset:16
	ds_write2_b64 v180, v[133:134], v[94:95] offset1:1
	ds_write_b64 v180, v[62:63] offset:16
	ds_write2_b64 v181, v[60:61], v[68:69] offset1:1
	ds_write_b64 v181, v[48:49] offset:16
	ds_write2_b64 v100, v[50:51], v[58:59] offset1:1
	ds_write_b64 v100, v[36:37] offset:16
	v_fma_f64 v[58:59], v[116:117], s[6:7], v[106:107]
	v_fma_f64 v[14:15], v[14:15], s[6:7], v[20:21]
	v_add_f64 v[16:17], v[4:5], v[46:47]
	v_fma_f64 v[118:119], v[40:41], -0.5, v[10:11]
	v_fma_f64 v[10:11], v[52:53], s[4:5], v[8:9]
	v_fma_f64 v[8:9], v[52:53], s[6:7], v[8:9]
	;; [unrolled: 1-line block ×4, first 2 shown]
	v_add_f64 v[149:150], v[0:1], -v[4:5]
	v_lshlrev_b32_e32 v0, 4, v124
	v_mad_i32_i24 v101, v127, 24, 0
	v_mad_i32_i24 v133, v126, 24, 0
	v_lshl_add_u32 v182, v174, 3, 0
	v_lshlrev_b32_e32 v192, 4, v178
	v_sub_nc_u32_e32 v160, v100, v0
	v_lshlrev_b32_e32 v0, 4, v127
	v_lshlrev_b32_e32 v1, 4, v126
	v_add_f64 v[145:146], v[6:7], v[2:3]
	v_mad_i32_i24 v134, v128, 24, 0
	v_lshlrev_b32_e32 v193, 4, v125
	v_lshlrev_b32_e32 v2, 4, v128
	;; [unrolled: 1-line block ×3, first 2 shown]
	v_add_nc_u32_e32 v183, 0x2000, v182
	v_add_nc_u32_e32 v187, 0x2800, v182
	v_sub_nc_u32_e32 v199, v180, v192
	v_add_nc_u32_e32 v195, 0x5000, v182
	v_sub_nc_u32_e32 v108, v101, v0
	v_sub_nc_u32_e32 v109, v133, v1
	v_add_nc_u32_e32 v196, 0x3c00, v182
	v_add_nc_u32_e32 v197, 0x5c00, v182
	v_fma_f64 v[72:73], v[112:113], s[4:5], v[98:99]
	v_add_nc_u32_e32 v184, 0x4000, v182
	v_add_nc_u32_e32 v188, 0x4800, v182
	v_lshl_add_u32 v185, v175, 3, 0
	v_sub_nc_u32_e32 v200, v181, v193
	v_add_nc_u32_e32 v189, 0x3400, v182
	v_sub_nc_u32_e32 v161, v134, v2
	v_fma_f64 v[84:85], v[88:89], s[6:7], v[141:142]
	v_lshl_add_u32 v186, v176, 3, 0
	v_add_nc_u32_e32 v194, 0x2c00, v182
	v_add_nc_u32_e32 v190, 0x5400, v182
	v_sub_nc_u32_e32 v198, v179, v191
	v_add_f64 v[96:97], v[18:19], v[28:29]
	ds_write2_b64 v101, v[34:35], v[42:43] offset1:1
	ds_write_b64 v101, v[26:27] offset:16
	ds_write2_b64 v133, v[24:25], v[12:13] offset1:1
	ds_write_b64 v133, v[14:15] offset:16
	;; [unrolled: 2-line block ×3, first 2 shown]
	s_waitcnt lgkmcnt(0)
	s_barrier
	buffer_gl0_inv
	ds_read2_b64 v[36:39], v183 offset0:56 offset1:164
	ds_read2_b64 v[28:31], v184 offset0:112 offset1:220
	;; [unrolled: 1-line block ×4, first 2 shown]
	ds_read_b64 v[86:87], v182
	ds_read_b64 v[60:61], v185
	;; [unrolled: 1-line block ×10, first 2 shown]
	ds_read2_b64 v[24:27], v194 offset0:104 offset1:212
	ds_read2_b64 v[20:23], v195 offset0:32 offset1:140
	ds_read2_b64 v[12:15], v189 offset0:64 offset1:172
	ds_read2_b64 v[8:11], v190 offset0:120 offset1:228
	v_fma_f64 v[88:89], v[88:89], s[4:5], v[141:142]
	ds_read2_b64 v[4:7], v196 offset0:24 offset1:132
	v_fma_f64 v[94:95], v[76:77], s[6:7], v[74:75]
	ds_read2_b64 v[0:3], v197 offset0:80 offset1:188
	s_waitcnt lgkmcnt(0)
	s_barrier
	buffer_gl0_inv
	v_fma_f64 v[74:75], v[76:77], s[4:5], v[74:75]
	ds_write2_b64 v151, v[110:111], v[58:59] offset1:1
	v_fma_f64 v[58:59], v[64:65], s[6:7], v[70:71]
	v_fma_f64 v[64:65], v[64:65], s[4:5], v[70:71]
	ds_write_b64 v151, v[62:63] offset:16
	v_fma_f64 v[62:63], v[56:57], s[6:7], v[82:83]
	v_fma_f64 v[56:57], v[56:57], s[4:5], v[82:83]
	ds_write2_b64 v152, v[102:103], v[68:69] offset1:1
	v_fma_f64 v[68:69], v[147:148], s[6:7], v[131:132]
	v_fma_f64 v[70:71], v[147:148], s[4:5], v[131:132]
	v_and_b32_e32 v162, 0xff, v174
	ds_write_b64 v152, v[72:73] offset:16
	ds_write2_b64 v153, v[90:91], v[84:85] offset1:1
	v_and_b32_e32 v203, 0xff, v175
	v_fma_f64 v[72:73], v[139:140], s[6:7], v[135:136]
	v_fma_f64 v[76:77], v[139:140], s[4:5], v[135:136]
	v_mul_lo_u16 v90, 0xab, v162
	ds_write_b64 v153, v[88:89] offset:16
	ds_write2_b64 v179, v[78:79], v[94:95] offset1:1
	v_fma_f64 v[78:79], v[114:115], s[4:5], v[104:105]
	v_fma_f64 v[84:85], v[149:150], s[6:7], v[118:119]
	v_lshrrev_b16 v136, 9, v90
	v_fma_f64 v[82:83], v[114:115], s[6:7], v[104:105]
	ds_write_b64 v179, v[74:75] offset:16
	ds_write2_b64 v180, v[66:67], v[58:59] offset1:1
	ds_write_b64 v180, v[64:65] offset:16
	v_mul_lo_u16 v58, 0xab, v203
	v_fma_f64 v[88:89], v[149:150], s[4:5], v[118:119]
	ds_write2_b64 v181, v[80:81], v[62:63] offset1:1
	ds_write_b64 v181, v[56:57] offset:16
	ds_write2_b64 v100, v[129:130], v[68:69] offset1:1
	ds_write_b64 v100, v[70:71] offset:16
	v_mul_lo_u16 v56, v136, 3
	v_lshrrev_b16 v137, 9, v58
	v_mov_b32_e32 v202, 5
	ds_write2_b64 v101, v[92:93], v[72:73] offset1:1
	ds_write_b64 v101, v[76:77] offset:16
	ds_write2_b64 v133, v[96:97], v[82:83] offset1:1
	v_sub_nc_u16 v138, v174, v56
	v_mul_lo_u16 v56, v137, 3
	ds_write_b64 v133, v[78:79] offset:16
	ds_write2_b64 v134, v[145:146], v[84:85] offset1:1
	ds_write_b64 v134, v[88:89] offset:16
	v_lshlrev_b32_sdwa v62, v202, v138 dst_sel:DWORD dst_unused:UNUSED_PAD src0_sel:DWORD src1_sel:BYTE_0
	v_sub_nc_u16 v139, v175, v56
	s_waitcnt lgkmcnt(0)
	s_barrier
	buffer_gl0_inv
	v_mov_b32_e32 v133, 0xaaab
	v_lshlrev_b32_sdwa v63, v202, v139 dst_sel:DWORD dst_unused:UNUSED_PAD src0_sel:DWORD src1_sel:BYTE_0
	s_clause 0x2
	global_load_dwordx4 v[56:59], v62, s[12:13]
	global_load_dwordx4 v[64:67], v63, s[12:13]
	global_load_dwordx4 v[68:71], v62, s[12:13] offset:16
	v_mul_u32_u24_sdwa v62, v176, v133 dst_sel:DWORD dst_unused:UNUSED_PAD src0_sel:WORD_0 src1_sel:DWORD
	global_load_dwordx4 v[72:75], v63, s[12:13] offset:16
	v_mul_u32_u24_sdwa v63, v177, v133 dst_sel:DWORD dst_unused:UNUSED_PAD src0_sel:WORD_0 src1_sel:DWORD
	v_mul_u32_u24_sdwa v84, v178, v133 dst_sel:DWORD dst_unused:UNUSED_PAD src0_sel:WORD_0 src1_sel:DWORD
	v_mov_b32_e32 v201, 3
	v_lshrrev_b32_e32 v168, 17, v62
	s_mov_b32 s18, 0x134454ff
	v_lshrrev_b32_e32 v166, 17, v63
	v_lshrrev_b32_e32 v165, 17, v84
	s_mov_b32 s19, 0x3fee6f0e
	v_mul_lo_u16 v62, v168, 3
	s_mov_b32 s1, 0xbfee6f0e
	v_mul_lo_u16 v63, v166, 3
	s_mov_b32 s0, s18
	s_mov_b32 s16, 0x4755a5e
	v_sub_nc_u16 v169, v176, v62
	s_mov_b32 s17, 0x3fe2cf23
	v_sub_nc_u16 v167, v177, v63
	s_mov_b32 s15, 0xbfe2cf23
	s_mov_b32 s14, s16
	v_lshlrev_b32_sdwa v62, v202, v169 dst_sel:DWORD dst_unused:UNUSED_PAD src0_sel:DWORD src1_sel:WORD_0
	s_mov_b32 s20, 0x372fe950
	v_lshlrev_b32_sdwa v63, v202, v167 dst_sel:DWORD dst_unused:UNUSED_PAD src0_sel:DWORD src1_sel:WORD_0
	s_clause 0x3
	global_load_dwordx4 v[76:79], v62, s[12:13]
	global_load_dwordx4 v[80:83], v63, s[12:13]
	global_load_dwordx4 v[88:91], v62, s[12:13] offset:16
	global_load_dwordx4 v[92:95], v63, s[12:13] offset:16
	v_mul_u32_u24_sdwa v62, v125, v133 dst_sel:DWORD dst_unused:UNUSED_PAD src0_sel:WORD_0 src1_sel:DWORD
	v_mul_lo_u16 v63, v165, 3
	s_mov_b32 s21, 0x3fd3c6ef
	s_mov_b32 s22, 0x9b97f4a8
	;; [unrolled: 1-line block ×3, first 2 shown]
	v_lshrrev_b32_e32 v110, 17, v62
	v_sub_nc_u16 v170, v178, v63
	v_mul_lo_u16 v62, v110, 3
	v_lshlrev_b32_sdwa v63, v202, v170 dst_sel:DWORD dst_unused:UNUSED_PAD src0_sel:DWORD src1_sel:WORD_0
	v_sub_nc_u16 v111, v125, v62
	global_load_dwordx4 v[96:99], v63, s[12:13]
	v_lshlrev_b32_sdwa v62, v202, v111 dst_sel:DWORD dst_unused:UNUSED_PAD src0_sel:DWORD src1_sel:WORD_0
	s_clause 0x2
	global_load_dwordx4 v[102:105], v62, s[12:13]
	global_load_dwordx4 v[129:132], v63, s[12:13] offset:16
	global_load_dwordx4 v[140:143], v62, s[12:13] offset:16
	ds_read2_b64 v[114:117], v183 offset0:56 offset1:164
	ds_read2_b64 v[144:147], v184 offset0:112 offset1:220
	v_mul_u32_u24_sdwa v62, v124, v133 dst_sel:DWORD dst_unused:UNUSED_PAD src0_sel:WORD_0 src1_sel:DWORD
	v_mul_u32_u24_sdwa v63, v127, v133 dst_sel:DWORD dst_unused:UNUSED_PAD src0_sel:WORD_0 src1_sel:DWORD
	ds_read2_b64 v[156:159], v195 offset0:32 offset1:140
	v_lshrrev_b32_e32 v163, 17, v62
	v_lshrrev_b32_e32 v112, 17, v63
	v_mul_lo_u16 v84, v163, 3
	v_mul_lo_u16 v85, v112, 3
	v_sub_nc_u16 v164, v124, v84
	v_sub_nc_u16 v113, v127, v85
	v_lshlrev_b32_sdwa v124, v202, v164 dst_sel:DWORD dst_unused:UNUSED_PAD src0_sel:DWORD src1_sel:WORD_0
	v_lshlrev_b32_sdwa v127, v202, v113 dst_sel:DWORD dst_unused:UNUSED_PAD src0_sel:DWORD src1_sel:WORD_0
	s_clause 0x1
	global_load_dwordx4 v[148:151], v124, s[12:13]
	global_load_dwordx4 v[152:155], v127, s[12:13]
	s_waitcnt vmcnt(13) lgkmcnt(2)
	v_mul_f64 v[62:63], v[114:115], v[58:59]
	v_mul_f64 v[58:59], v[36:37], v[58:59]
	s_waitcnt vmcnt(12)
	v_mul_f64 v[100:101], v[116:117], v[66:67]
	v_mul_f64 v[66:67], v[38:39], v[66:67]
	s_waitcnt vmcnt(11) lgkmcnt(1)
	v_mul_f64 v[106:107], v[144:145], v[70:71]
	v_mul_f64 v[70:71], v[28:29], v[70:71]
	v_fma_f64 v[36:37], v[36:37], v[56:57], -v[62:63]
	v_fma_f64 v[84:85], v[114:115], v[56:57], v[58:59]
	s_waitcnt vmcnt(10)
	v_mul_f64 v[114:115], v[146:147], v[74:75]
	ds_read2_b64 v[56:59], v187 offset0:16 offset1:124
	v_fma_f64 v[62:63], v[38:39], v[64:65], -v[100:101]
	v_fma_f64 v[66:67], v[116:117], v[64:65], v[66:67]
	v_mul_f64 v[64:65], v[30:31], v[74:75]
	v_fma_f64 v[28:29], v[28:29], v[68:69], -v[106:107]
	v_fma_f64 v[38:39], v[144:145], v[68:69], v[70:71]
	ds_read2_b64 v[116:119], v188 offset0:72 offset1:180
	s_waitcnt vmcnt(9) lgkmcnt(1)
	v_mul_f64 v[68:69], v[56:57], v[78:79]
	v_fma_f64 v[70:71], v[30:31], v[72:73], -v[114:115]
	v_mul_f64 v[30:31], v[32:33], v[78:79]
	s_waitcnt vmcnt(8)
	v_mul_f64 v[78:79], v[58:59], v[82:83]
	v_mul_f64 v[82:83], v[34:35], v[82:83]
	v_fma_f64 v[72:73], v[146:147], v[72:73], v[64:65]
	global_load_dwordx4 v[144:147], v127, s[12:13] offset:16
	s_waitcnt vmcnt(8) lgkmcnt(0)
	v_mul_f64 v[100:101], v[116:117], v[90:91]
	v_fma_f64 v[64:65], v[32:33], v[76:77], -v[68:69]
	v_fma_f64 v[68:69], v[56:57], v[76:77], v[30:31]
	v_fma_f64 v[56:57], v[34:35], v[80:81], -v[78:79]
	v_mul_f64 v[78:79], v[16:17], v[90:91]
	global_load_dwordx4 v[31:34], v124, s[12:13] offset:16
	ds_read2_b64 v[74:77], v194 offset0:104 offset1:212
	s_waitcnt vmcnt(8)
	v_mul_f64 v[90:91], v[118:119], v[94:95]
	v_mul_u32_u24_sdwa v30, v126, v133 dst_sel:DWORD dst_unused:UNUSED_PAD src0_sel:WORD_0 src1_sel:DWORD
	v_mul_u32_u24_sdwa v35, v128, v133 dst_sel:DWORD dst_unused:UNUSED_PAD src0_sel:WORD_0 src1_sel:DWORD
	v_fma_f64 v[58:59], v[58:59], v[80:81], v[82:83]
	v_mul_f64 v[82:83], v[18:19], v[94:95]
	v_fma_f64 v[124:125], v[16:17], v[88:89], -v[100:101]
	v_lshrrev_b32_e32 v30, 17, v30
	v_lshrrev_b32_e32 v16, 17, v35
	v_mul_lo_u16 v17, v30, 3
	v_sub_nc_u16 v17, v126, v17
	s_waitcnt vmcnt(7) lgkmcnt(0)
	v_mul_f64 v[94:95], v[74:75], v[98:99]
	v_fma_f64 v[116:117], v[116:117], v[88:89], v[78:79]
	v_mul_f64 v[78:79], v[24:25], v[98:99]
	s_waitcnt vmcnt(6)
	v_mul_f64 v[88:89], v[76:77], v[104:105]
	v_fma_f64 v[80:81], v[18:19], v[92:93], -v[90:91]
	v_mul_lo_u16 v18, v16, 3
	v_lshlrev_b32_sdwa v19, v202, v17 dst_sel:DWORD dst_unused:UNUSED_PAD src0_sel:DWORD src1_sel:WORD_0
	v_fma_f64 v[106:107], v[118:119], v[92:93], v[82:83]
	v_mul_f64 v[82:83], v[26:27], v[104:105]
	v_mul_u32_u24_e32 v16, 0x48, v16
	v_sub_nc_u16 v18, v128, v18
	s_clause 0x1
	global_load_dwordx4 v[204:207], v19, s[12:13]
	global_load_dwordx4 v[208:211], v19, s[12:13] offset:16
	v_lshlrev_b32_sdwa v17, v201, v17 dst_sel:DWORD dst_unused:UNUSED_PAD src0_sel:DWORD src1_sel:WORD_0
	v_lshlrev_b32_sdwa v35, v202, v18 dst_sel:DWORD dst_unused:UNUSED_PAD src0_sel:DWORD src1_sel:WORD_0
	;; [unrolled: 1-line block ×3, first 2 shown]
	global_load_dwordx4 v[212:215], v35, s[12:13] offset:16
	v_fma_f64 v[90:91], v[24:25], v[96:97], -v[94:95]
	v_fma_f64 v[100:101], v[74:75], v[96:97], v[78:79]
	v_fma_f64 v[78:79], v[26:27], v[102:103], -v[88:89]
	global_load_dwordx4 v[24:27], v35, s[12:13]
	s_waitcnt vmcnt(9)
	v_mul_f64 v[74:75], v[156:157], v[131:132]
	s_waitcnt vmcnt(7)
	v_mul_f64 v[88:89], v[12:13], v[150:151]
	v_lshlrev_b32_sdwa v35, v201, v111 dst_sel:DWORD dst_unused:UNUSED_PAD src0_sel:DWORD src1_sel:WORD_0
	v_fma_f64 v[94:95], v[76:77], v[102:103], v[82:83]
	v_mul_f64 v[76:77], v[20:21], v[131:132]
	v_fma_f64 v[132:133], v[20:21], v[129:130], -v[74:75]
	v_mul_f64 v[19:20], v[158:159], v[142:143]
	v_fma_f64 v[74:75], v[156:157], v[129:130], v[76:77]
	v_fma_f64 v[128:129], v[22:23], v[140:141], -v[19:20]
	v_mul_f64 v[19:20], v[22:23], v[142:143]
	v_mov_b32_e32 v23, 0x48
	v_fma_f64 v[76:77], v[158:159], v[140:141], v[19:20]
	ds_read2_b64 v[19:22], v189 offset0:64 offset1:172
	s_waitcnt lgkmcnt(0)
	v_mul_f64 v[82:83], v[19:20], v[150:151]
	s_waitcnt vmcnt(6)
	v_mul_f64 v[92:93], v[21:22], v[154:155]
	v_fma_f64 v[130:131], v[19:20], v[148:149], v[88:89]
	v_mul_f64 v[19:20], v[14:15], v[154:155]
	v_fma_f64 v[96:97], v[12:13], v[148:149], -v[82:83]
	v_fma_f64 v[92:93], v[14:15], v[152:153], -v[92:93]
	ds_read2_b64 v[12:15], v190 offset0:120 offset1:228
	v_fma_f64 v[98:99], v[21:22], v[152:153], v[19:20]
	ds_read2_b64 v[19:22], v196 offset0:24 offset1:132
	s_waitcnt vmcnt(5) lgkmcnt(1)
	v_mul_f64 v[88:89], v[14:15], v[146:147]
	s_waitcnt vmcnt(4)
	v_mul_f64 v[82:83], v[12:13], v[33:34]
	v_mul_f64 v[33:34], v[8:9], v[33:34]
	v_fma_f64 v[104:105], v[10:11], v[144:145], -v[88:89]
	v_fma_f64 v[102:103], v[8:9], v[31:32], -v[82:83]
	v_mul_f64 v[8:9], v[10:11], v[146:147]
	v_fma_f64 v[82:83], v[12:13], v[31:32], v[33:34]
	s_waitcnt vmcnt(3) lgkmcnt(0)
	v_mul_f64 v[12:13], v[19:20], v[206:207]
	v_mul_f64 v[31:32], v[4:5], v[206:207]
	v_add3_u32 v207, 0, v16, v18
	v_fma_f64 v[88:89], v[14:15], v[144:145], v[8:9]
	v_add_f64 v[14:15], v[36:37], v[28:29]
	s_waitcnt vmcnt(0)
	v_mul_f64 v[33:34], v[21:22], v[26:27]
	ds_read2_b64 v[8:11], v197 offset0:80 offset1:188
	v_mul_f64 v[26:27], v[6:7], v[26:27]
	ds_read_b64 v[144:145], v108
	ds_read_b64 v[142:143], v109
	;; [unrolled: 1-line block ×5, first 2 shown]
	v_fma_f64 v[118:119], v[4:5], v[204:205], -v[12:13]
	v_fma_f64 v[126:127], v[19:20], v[204:205], v[31:32]
	v_add_f64 v[12:13], v[84:85], -v[38:39]
	v_mul_f64 v[19:20], v[0:1], v[210:211]
	v_add_f64 v[31:32], v[62:63], v[70:71]
	s_waitcnt lgkmcnt(5)
	v_mul_f64 v[4:5], v[8:9], v[210:211]
	v_fma_f64 v[114:115], v[6:7], v[24:25], -v[33:34]
	v_add_f64 v[6:7], v[86:87], v[36:37]
	v_fma_f64 v[14:15], v[14:15], -0.5, v[86:87]
	v_fma_f64 v[134:135], v[21:22], v[24:25], v[26:27]
	v_mul_u32_u24_sdwa v25, v136, v23 dst_sel:DWORD dst_unused:UNUSED_PAD src0_sel:WORD_0 src1_sel:DWORD
	v_mul_u32_u24_sdwa v26, v137, v23 dst_sel:DWORD dst_unused:UNUSED_PAD src0_sel:WORD_0 src1_sel:DWORD
	v_lshlrev_b32_sdwa v27, v201, v138 dst_sel:DWORD dst_unused:UNUSED_PAD src0_sel:DWORD src1_sel:BYTE_0
	v_lshlrev_b32_sdwa v33, v201, v139 dst_sel:DWORD dst_unused:UNUSED_PAD src0_sel:DWORD src1_sel:BYTE_0
	v_mul_f64 v[21:22], v[10:11], v[214:215]
	v_mul_f64 v[23:24], v[2:3], v[214:215]
	v_fma_f64 v[136:137], v[8:9], v[208:209], v[19:20]
	v_add3_u32 v172, 0, v25, v27
	v_add3_u32 v171, 0, v26, v33
	v_add_f64 v[8:9], v[66:67], -v[72:73]
	v_add_f64 v[19:20], v[64:65], v[124:125]
	v_fma_f64 v[25:26], v[31:32], -0.5, v[60:61]
	v_mul_u32_u24_e32 v27, 0x48, v165
	v_lshlrev_b32_sdwa v31, v201, v170 dst_sel:DWORD dst_unused:UNUSED_PAD src0_sel:DWORD src1_sel:WORD_0
	v_add_f64 v[33:34], v[48:49], v[118:119]
	v_fma_f64 v[138:139], v[0:1], v[208:209], -v[4:5]
	v_add_f64 v[0:1], v[6:7], v[28:29]
	v_fma_f64 v[4:5], v[12:13], s[4:5], v[14:15]
	v_add_f64 v[6:7], v[60:61], v[62:63]
	v_add_f64 v[62:63], v[62:63], -v[70:71]
	v_fma_f64 v[140:141], v[2:3], v[212:213], -v[21:22]
	v_fma_f64 v[60:61], v[10:11], v[212:213], v[23:24]
	ds_read_b64 v[2:3], v182
	ds_read_b64 v[158:159], v185
	;; [unrolled: 1-line block ×4, first 2 shown]
	v_fma_f64 v[10:11], v[12:13], s[6:7], v[14:15]
	ds_read_b64 v[146:147], v161
	s_waitcnt lgkmcnt(0)
	s_barrier
	buffer_gl0_inv
	v_fma_f64 v[12:13], v[19:20], -0.5, v[54:55]
	v_fma_f64 v[14:15], v[8:9], s[4:5], v[25:26]
	v_add_f64 v[19:20], v[68:69], -v[116:117]
	v_fma_f64 v[8:9], v[8:9], s[6:7], v[25:26]
	v_add_f64 v[21:22], v[52:53], v[56:57]
	v_mul_u32_u24_e32 v25, 0x48, v168
	v_lshlrev_b32_sdwa v26, v201, v169 dst_sel:DWORD dst_unused:UNUSED_PAD src0_sel:DWORD src1_sel:WORD_0
	v_add_f64 v[23:24], v[50:51], v[90:91]
	ds_write2_b64 v172, v[0:1], v[4:5] offset1:3
	v_add_f64 v[0:1], v[54:55], v[64:65]
	v_add_f64 v[4:5], v[56:57], v[80:81]
	;; [unrolled: 1-line block ×3, first 2 shown]
	v_add3_u32 v54, 0, v25, v26
	v_mul_u32_u24_e32 v25, 0x48, v166
	v_lshlrev_b32_sdwa v26, v201, v167 dst_sel:DWORD dst_unused:UNUSED_PAD src0_sel:DWORD src1_sel:WORD_0
	v_add_f64 v[167:168], v[36:37], -v[28:29]
	v_add_f64 v[64:65], v[64:65], -v[124:125]
	ds_write_b64 v172, v[10:11] offset:48
	v_add_f64 v[10:11], v[90:91], v[132:133]
	v_add_f64 v[55:56], v[56:57], -v[80:81]
	v_add_f64 v[90:91], v[90:91], -v[132:133]
	ds_write_b64 v171, v[8:9] offset:48
	v_add_f64 v[21:22], v[21:22], v[80:81]
	v_add_f64 v[8:9], v[78:79], v[128:129]
	v_add_f64 v[80:81], v[152:153], v[100:101]
	v_add_f64 v[23:24], v[23:24], v[132:133]
	v_add_f64 v[0:1], v[0:1], v[124:125]
	v_fma_f64 v[4:5], v[4:5], -0.5, v[52:53]
	ds_write2_b64 v171, v[6:7], v[14:15] offset1:3
	v_fma_f64 v[6:7], v[19:20], s[4:5], v[12:13]
	v_add_f64 v[14:15], v[58:59], -v[106:107]
	v_fma_f64 v[12:13], v[19:20], s[6:7], v[12:13]
	v_add3_u32 v53, 0, v25, v26
	v_add_f64 v[19:20], v[100:101], -v[74:75]
	v_add_f64 v[25:26], v[96:97], v[102:103]
	v_fma_f64 v[10:11], v[10:11], -0.5, v[50:51]
	v_add3_u32 v52, 0, v27, v31
	v_add_f64 v[31:32], v[44:45], v[78:79]
	v_mul_u32_u24_e32 v27, 0x48, v110
	v_add_nc_u32_e32 v51, 0xc00, v182
	v_add_nc_u32_e32 v50, 0x1400, v182
	v_add_f64 v[78:79], v[78:79], -v[128:129]
	v_add_f64 v[124:125], v[126:127], v[136:137]
	v_add3_u32 v173, 0, v27, v35
	v_fma_f64 v[8:9], v[8:9], -0.5, v[44:45]
	v_add_f64 v[44:45], v[134:135], -v[60:61]
	v_mul_u32_u24_e32 v27, 0x48, v163
	v_lshlrev_b32_sdwa v35, v201, v164 dst_sel:DWORD dst_unused:UNUSED_PAD src0_sel:DWORD src1_sel:WORD_0
	ds_write2_b64 v54, v[0:1], v[6:7] offset1:3
	v_fma_f64 v[0:1], v[14:15], s[4:5], v[4:5]
	ds_write_b64 v54, v[12:13] offset:48
	v_add_f64 v[6:7], v[94:95], -v[76:77]
	v_fma_f64 v[4:5], v[14:15], s[6:7], v[4:5]
	v_add_f64 v[12:13], v[92:93], v[104:105]
	v_fma_f64 v[14:15], v[19:20], s[4:5], v[10:11]
	v_fma_f64 v[10:11], v[19:20], s[6:7], v[10:11]
	v_add_f64 v[19:20], v[130:131], -v[82:83]
	v_add_f64 v[31:32], v[31:32], v[128:129]
	v_add3_u32 v204, 0, v27, v35
	v_add_f64 v[128:129], v[148:149], v[130:131]
	v_fma_f64 v[124:125], v[124:125], -0.5, v[142:143]
	ds_write2_b64 v53, v[21:22], v[0:1] offset1:3
	v_add_f64 v[0:1], v[118:119], v[138:139]
	v_add_f64 v[21:22], v[114:115], v[140:141]
	ds_write_b64 v53, v[4:5] offset:48
	ds_write2_b64 v52, v[23:24], v[14:15] offset1:3
	v_fma_f64 v[4:5], v[6:7], s[4:5], v[8:9]
	v_fma_f64 v[6:7], v[6:7], s[6:7], v[8:9]
	v_fma_f64 v[8:9], v[25:26], -0.5, v[40:41]
	v_add_f64 v[14:15], v[40:41], v[96:97]
	v_fma_f64 v[12:13], v[12:13], -0.5, v[42:43]
	v_add_f64 v[23:24], v[42:43], v[92:93]
	v_add_f64 v[25:26], v[98:99], -v[88:89]
	v_add_f64 v[42:43], v[46:47], v[114:115]
	v_add_f64 v[40:41], v[126:127], -v[136:137]
	ds_write_b64 v52, v[10:11] offset:48
	v_add_f64 v[96:97], v[96:97], -v[102:103]
	v_add_f64 v[92:93], v[92:93], -v[104:105]
	v_add_f64 v[118:119], v[118:119], -v[138:139]
	v_add_f64 v[114:115], v[114:115], -v[140:141]
	v_fma_f64 v[0:1], v[0:1], -0.5, v[48:49]
	v_add_f64 v[48:49], v[84:85], v[38:39]
	v_fma_f64 v[21:22], v[21:22], -0.5, v[46:47]
	v_add_f64 v[46:47], v[2:3], v[84:85]
	ds_write2_b64 v173, v[31:32], v[4:5] offset1:3
	ds_write_b64 v173, v[6:7] offset:48
	v_mul_u32_u24_e32 v6, 0x48, v112
	v_add_f64 v[10:11], v[14:15], v[102:103]
	v_fma_f64 v[14:15], v[19:20], s[4:5], v[8:9]
	v_fma_f64 v[8:9], v[19:20], s[6:7], v[8:9]
	v_add_f64 v[19:20], v[23:24], v[104:105]
	v_fma_f64 v[23:24], v[25:26], s[4:5], v[12:13]
	v_fma_f64 v[12:13], v[25:26], s[6:7], v[12:13]
	v_add_f64 v[25:26], v[33:34], v[138:139]
	v_lshlrev_b32_sdwa v7, v201, v113 dst_sel:DWORD dst_unused:UNUSED_PAD src0_sel:DWORD src1_sel:WORD_0
	v_add_f64 v[104:105], v[142:143], v[126:127]
	v_add3_u32 v205, 0, v6, v7
	v_fma_f64 v[33:34], v[40:41], s[4:5], v[0:1]
	v_fma_f64 v[165:166], v[48:49], -0.5, v[2:3]
	v_fma_f64 v[4:5], v[44:45], s[6:7], v[21:22]
	v_add_f64 v[163:164], v[46:47], v[38:39]
	v_fma_f64 v[0:1], v[40:41], s[6:7], v[0:1]
	v_add_f64 v[40:41], v[42:43], v[140:141]
	v_fma_f64 v[42:43], v[44:45], s[4:5], v[21:22]
	v_mul_u32_u24_e32 v21, 0x48, v30
	ds_write2_b64 v204, v[10:11], v[14:15] offset1:3
	ds_write_b64 v204, v[8:9] offset:48
	v_add3_u32 v206, 0, v21, v17
	ds_write2_b64 v205, v[19:20], v[23:24] offset1:3
	ds_write_b64 v205, v[12:13] offset:48
	ds_write2_b64 v206, v[25:26], v[33:34] offset1:3
	ds_write_b64 v206, v[0:1] offset:48
	ds_write2_b64 v207, v[40:41], v[42:43] offset1:3
	v_fma_f64 v[169:170], v[167:168], s[6:7], v[165:166]
	ds_write_b64 v207, v[4:5] offset:48
	s_waitcnt lgkmcnt(0)
	s_barrier
	buffer_gl0_inv
	ds_read_b64 v[86:87], v160
	ds_read_b64 v[112:113], v161
	;; [unrolled: 1-line block ×6, first 2 shown]
	ds_read2_b64 v[44:47], v187 offset0:16 offset1:124
	ds_read2_b64 v[20:23], v194 offset0:104 offset1:212
	;; [unrolled: 1-line block ×12, first 2 shown]
	s_waitcnt lgkmcnt(0)
	s_barrier
	buffer_gl0_inv
	ds_write2_b64 v172, v[163:164], v[169:170] offset1:3
	v_fma_f64 v[163:164], v[167:168], s[4:5], v[165:166]
	ds_write_b64 v172, v[163:164] offset:48
	v_add_f64 v[163:164], v[66:67], v[72:73]
	v_add_f64 v[66:67], v[158:159], v[66:67]
	v_fma_f64 v[158:159], v[163:164], -0.5, v[158:159]
	v_add_f64 v[66:67], v[66:67], v[72:73]
	v_add_f64 v[72:73], v[100:101], v[74:75]
	;; [unrolled: 1-line block ×4, first 2 shown]
	v_fma_f64 v[70:71], v[62:63], s[6:7], v[158:159]
	v_fma_f64 v[62:63], v[62:63], s[4:5], v[158:159]
	v_fma_f64 v[72:73], v[72:73], -0.5, v[152:153]
	v_fma_f64 v[100:101], v[100:101], -0.5, v[150:151]
	ds_write2_b64 v171, v[66:67], v[70:71] offset1:3
	v_add_f64 v[66:67], v[68:69], v[116:117]
	v_add_f64 v[68:69], v[156:157], v[68:69]
	ds_write_b64 v171, v[62:63] offset:48
	v_add_f64 v[62:63], v[146:147], v[134:135]
	v_fma_f64 v[66:67], v[66:67], -0.5, v[156:157]
	v_add_f64 v[68:69], v[68:69], v[116:117]
	v_add_f64 v[116:117], v[98:99], v[88:89]
	;; [unrolled: 1-line block ×3, first 2 shown]
	v_fma_f64 v[70:71], v[64:65], s[6:7], v[66:67]
	v_fma_f64 v[64:65], v[64:65], s[4:5], v[66:67]
	v_add_f64 v[66:67], v[58:59], v[106:107]
	v_add_f64 v[58:59], v[154:155], v[58:59]
	v_fma_f64 v[116:117], v[116:117], -0.5, v[144:145]
	ds_write2_b64 v54, v[68:69], v[70:71] offset1:3
	v_fma_f64 v[68:69], v[90:91], s[6:7], v[72:73]
	v_fma_f64 v[66:67], v[66:67], -0.5, v[154:155]
	v_add_f64 v[57:58], v[58:59], v[106:107]
	v_add_f64 v[106:107], v[130:131], v[82:83]
	;; [unrolled: 1-line block ×3, first 2 shown]
	v_fma_f64 v[70:71], v[90:91], s[4:5], v[72:73]
	v_add_f64 v[72:73], v[94:95], v[76:77]
	ds_write_b64 v54, v[64:65] offset:48
	v_mul_lo_u16 v54, v162, 57
	v_fma_f64 v[64:65], v[78:79], s[4:5], v[100:101]
	v_add_f64 v[76:77], v[128:129], v[82:83]
	v_fma_f64 v[82:83], v[92:93], s[6:7], v[116:117]
	v_add_f64 v[90:91], v[104:105], v[136:137]
	v_lshrrev_b16 v150, 9, v54
	v_fma_f64 v[94:95], v[118:119], s[4:5], v[124:125]
	v_add_f64 v[59:60], v[62:63], v[60:61]
	v_fma_f64 v[102:103], v[55:56], s[6:7], v[66:67]
	v_fma_f64 v[55:56], v[55:56], s[4:5], v[66:67]
	v_fma_f64 v[106:107], v[106:107], -0.5, v[148:149]
	v_fma_f64 v[126:127], v[130:131], -0.5, v[146:147]
	v_add_f64 v[66:67], v[80:81], v[74:75]
	v_fma_f64 v[74:75], v[78:79], s[6:7], v[100:101]
	ds_write2_b64 v53, v[57:58], v[102:103] offset1:3
	ds_write_b64 v53, v[55:56] offset:48
	v_mul_lo_u16 v53, v203, 57
	v_fma_f64 v[78:79], v[96:97], s[6:7], v[106:107]
	v_fma_f64 v[80:81], v[96:97], s[4:5], v[106:107]
	v_add_f64 v[57:58], v[98:99], v[88:89]
	v_fma_f64 v[88:89], v[92:93], s[4:5], v[116:117]
	v_lshrrev_b16 v149, 9, v53
	v_fma_f64 v[92:93], v[118:119], s[6:7], v[124:125]
	v_fma_f64 v[96:97], v[114:115], s[4:5], v[126:127]
	;; [unrolled: 1-line block ×3, first 2 shown]
	ds_write2_b64 v52, v[66:67], v[68:69] offset1:3
	ds_write_b64 v52, v[70:71] offset:48
	ds_write2_b64 v173, v[72:73], v[74:75] offset1:3
	v_mul_lo_u16 v52, v150, 9
	v_mul_lo_u16 v53, v149, 9
	v_mov_b32_e32 v68, 9
	ds_write_b64 v173, v[64:65] offset:48
	ds_write2_b64 v204, v[76:77], v[78:79] offset1:3
	ds_write_b64 v204, v[80:81] offset:48
	v_sub_nc_u16 v151, v174, v52
	v_sub_nc_u16 v148, v175, v53
	ds_write2_b64 v205, v[57:58], v[82:83] offset1:3
	ds_write_b64 v205, v[88:89] offset:48
	v_mov_b32_e32 v69, 0xe38f
	v_add_nc_u32_e32 v204, 0x1000, v182
	v_mul_u32_u24_sdwa v52, v151, v68 dst_sel:DWORD dst_unused:UNUSED_PAD src0_sel:BYTE_0 src1_sel:DWORD
	v_mul_u32_u24_sdwa v53, v148, v68 dst_sel:DWORD dst_unused:UNUSED_PAD src0_sel:BYTE_0 src1_sel:DWORD
	ds_write2_b64 v206, v[90:91], v[92:93] offset1:3
	ds_write_b64 v206, v[94:95] offset:48
	ds_write2_b64 v207, v[59:60], v[61:62] offset1:3
	ds_write_b64 v207, v[96:97] offset:48
	v_lshlrev_b32_e32 v80, 4, v52
	v_lshlrev_b32_e32 v81, 4, v53
	s_waitcnt lgkmcnt(0)
	s_barrier
	buffer_gl0_inv
	s_clause 0x5
	global_load_dwordx4 v[52:55], v80, s[12:13] offset:144
	global_load_dwordx4 v[56:59], v81, s[12:13] offset:144
	;; [unrolled: 1-line block ×6, first 2 shown]
	v_mul_u32_u24_sdwa v69, v176, v69 dst_sel:DWORD dst_unused:UNUSED_PAD src0_sel:WORD_0 src1_sel:DWORD
	v_add_nc_u32_e32 v205, 0x1800, v182
	v_lshrrev_b32_e32 v162, 19, v69
	v_mul_lo_u16 v69, v162, 9
	v_sub_nc_u16 v163, v176, v69
	v_mul_u32_u24_sdwa v68, v163, v68 dst_sel:DWORD dst_unused:UNUSED_PAD src0_sel:WORD_0 src1_sel:DWORD
	v_lshlrev_b32_e32 v168, 4, v68
	s_clause 0xa
	global_load_dwordx4 v[100:103], v81, s[12:13] offset:96
	global_load_dwordx4 v[104:107], v168, s[12:13] offset:96
	;; [unrolled: 1-line block ×11, first 2 shown]
	ds_read2_b64 v[70:73], v187 offset0:16 offset1:124
	ds_read2_b64 v[94:97], v195 offset0:32 offset1:140
	global_load_dwordx4 v[164:167], v168, s[12:13] offset:176
	s_waitcnt vmcnt(17) lgkmcnt(1)
	v_mul_f64 v[68:69], v[70:71], v[54:55]
	v_mul_f64 v[54:55], v[44:45], v[54:55]
	s_waitcnt vmcnt(16)
	v_mul_f64 v[78:79], v[72:73], v[58:59]
	v_mul_f64 v[58:59], v[46:47], v[58:59]
	v_fma_f64 v[44:45], v[44:45], v[52:53], -v[68:69]
	v_fma_f64 v[98:99], v[70:71], v[52:53], v[54:55]
	ds_read2_b64 v[52:55], v196 offset0:24 offset1:132
	v_fma_f64 v[70:71], v[46:47], v[56:57], -v[78:79]
	v_fma_f64 v[58:59], v[72:73], v[56:57], v[58:59]
	s_waitcnt vmcnt(15)
	v_mul_f64 v[56:57], v[40:41], v[62:63]
	s_waitcnt vmcnt(9)
	v_mul_f64 v[82:83], v[28:29], v[116:117]
	s_waitcnt lgkmcnt(0)
	v_mul_f64 v[46:47], v[52:53], v[62:63]
	v_mul_f64 v[62:63], v[54:55], v[66:67]
	v_fma_f64 v[88:89], v[52:53], v[60:61], v[56:57]
	v_mul_f64 v[56:57], v[94:95], v[76:77]
	v_fma_f64 v[40:41], v[40:41], v[60:61], -v[46:47]
	v_mul_f64 v[46:47], v[42:43], v[66:67]
	v_fma_f64 v[72:73], v[42:43], v[64:65], -v[62:63]
	v_mul_f64 v[42:43], v[36:37], v[76:77]
	ds_read2_b64 v[66:69], v50 offset0:116 offset1:224
	v_fma_f64 v[36:37], v[36:37], v[74:75], -v[56:57]
	v_add_f64 v[213:214], v[44:45], -v[40:41]
	v_fma_f64 v[60:61], v[54:55], v[64:65], v[46:47]
	v_mul_f64 v[46:47], v[96:97], v[92:93]
	v_fma_f64 v[94:95], v[94:95], v[74:75], v[42:43]
	v_mul_f64 v[42:43], v[38:39], v[92:93]
	ds_read2_b64 v[51:54], v51 offset0:48 offset1:156
	v_mul_f64 v[55:56], v[34:35], v[106:107]
	s_waitcnt lgkmcnt(1)
	v_mul_f64 v[64:65], v[66:67], v[116:117]
	v_fma_f64 v[66:67], v[66:67], v[114:115], v[82:83]
	v_fma_f64 v[74:75], v[38:39], v[90:91], -v[46:47]
	s_waitcnt lgkmcnt(0)
	v_mul_f64 v[38:39], v[51:52], v[102:103]
	v_mul_f64 v[46:47], v[32:33], v[102:103]
	v_fma_f64 v[62:63], v[96:97], v[90:91], v[42:43]
	v_mul_f64 v[42:43], v[53:54], v[106:107]
	ds_read2_b64 v[90:93], v183 offset0:56 offset1:164
	v_fma_f64 v[78:79], v[28:29], v[114:115], -v[64:65]
	v_fma_f64 v[38:39], v[32:33], v[100:101], -v[38:39]
	v_fma_f64 v[76:77], v[51:52], v[100:101], v[46:47]
	s_waitcnt vmcnt(8)
	v_mul_f64 v[46:47], v[68:69], v[126:127]
	v_fma_f64 v[32:33], v[34:35], v[104:105], -v[42:43]
	v_mul_f64 v[34:35], v[30:31], v[126:127]
	v_fma_f64 v[50:51], v[53:54], v[104:105], v[55:56]
	s_clause 0x1
	global_load_dwordx4 v[104:107], v81, s[12:13] offset:192
	global_load_dwordx4 v[116:119], v168, s[12:13] offset:192
	ds_read2_b64 v[100:103], v194 offset0:104 offset1:212
	s_waitcnt vmcnt(9) lgkmcnt(1)
	v_mul_f64 v[28:29], v[90:91], v[130:131]
	s_waitcnt vmcnt(8)
	v_mul_f64 v[42:43], v[26:27], v[134:135]
	s_waitcnt vmcnt(7)
	v_mul_f64 v[56:57], v[22:23], v[138:139]
	v_fma_f64 v[64:65], v[30:31], v[124:125], -v[46:47]
	v_mul_f64 v[30:31], v[24:25], v[130:131]
	v_fma_f64 v[52:53], v[68:69], v[124:125], v[34:35]
	v_mul_f64 v[34:35], v[92:93], v[134:135]
	s_waitcnt lgkmcnt(0)
	v_mul_f64 v[46:47], v[102:103], v[138:139]
	ds_read2_b64 v[124:127], v189 offset0:64 offset1:172
	v_fma_f64 v[28:29], v[24:25], v[128:129], -v[28:29]
	v_fma_f64 v[54:55], v[92:93], v[132:133], v[42:43]
	v_fma_f64 v[82:83], v[90:91], v[128:129], v[30:31]
	s_waitcnt vmcnt(6)
	v_mul_f64 v[30:31], v[100:101], v[142:143]
	v_fma_f64 v[24:25], v[26:27], v[132:133], -v[34:35]
	v_mul_f64 v[34:35], v[20:21], v[142:143]
	s_clause 0x1
	global_load_dwordx4 v[128:131], v80, s[12:13] offset:224
	global_load_dwordx4 v[132:135], v168, s[12:13] offset:208
	v_fma_f64 v[26:27], v[22:23], v[136:137], -v[46:47]
	s_waitcnt vmcnt(7) lgkmcnt(0)
	v_mul_f64 v[42:43], v[124:125], v[146:147]
	v_mul_f64 v[46:47], v[16:17], v[146:147]
	v_fma_f64 v[22:23], v[102:103], v[136:137], v[56:57]
	ds_read2_b64 v[136:139], v184 offset0:112 offset1:220
	v_fma_f64 v[68:69], v[20:21], v[140:141], -v[30:31]
	s_waitcnt vmcnt(6)
	v_mul_f64 v[30:31], v[126:127], v[154:155]
	v_fma_f64 v[56:57], v[100:101], v[140:141], v[34:35]
	v_mul_f64 v[34:35], v[18:19], v[154:155]
	global_load_dwordx4 v[140:143], v80, s[12:13] offset:128
	v_fma_f64 v[20:21], v[16:17], v[144:145], -v[42:43]
	v_fma_f64 v[100:101], v[124:125], v[144:145], v[46:47]
	global_load_dwordx4 v[144:147], v80, s[12:13] offset:112
	s_waitcnt vmcnt(7)
	v_mul_f64 v[42:43], v[14:15], v[158:159]
	v_fma_f64 v[16:17], v[18:19], v[152:153], -v[30:31]
	s_waitcnt lgkmcnt(0)
	v_mul_f64 v[18:19], v[138:139], v[158:159]
	v_fma_f64 v[90:91], v[126:127], v[152:153], v[34:35]
	s_clause 0x1
	global_load_dwordx4 v[124:127], v80, s[12:13] offset:96
	global_load_dwordx4 v[152:155], v81, s[12:13] offset:224
	v_fma_f64 v[30:31], v[14:15], v[156:157], -v[18:19]
	v_fma_f64 v[14:15], v[138:139], v[156:157], v[42:43]
	global_load_dwordx4 v[156:159], v168, s[12:13] offset:224
	s_waitcnt vmcnt(9)
	v_mul_f64 v[18:19], v[136:137], v[166:167]
	v_fma_f64 v[102:103], v[12:13], v[164:165], -v[18:19]
	v_mul_f64 v[12:13], v[12:13], v[166:167]
	v_fma_f64 v[92:93], v[136:137], v[164:165], v[12:13]
	ds_read2_b64 v[136:139], v188 offset0:72 offset1:180
	ds_read2_b64 v[164:167], v190 offset0:120 offset1:228
	s_waitcnt vmcnt(8) lgkmcnt(1)
	v_mul_f64 v[12:13], v[136:137], v[106:107]
	v_mul_f64 v[18:19], v[8:9], v[106:107]
	s_waitcnt vmcnt(7)
	v_mul_f64 v[34:35], v[138:139], v[118:119]
	v_fma_f64 v[12:13], v[8:9], v[104:105], -v[12:13]
	v_mul_f64 v[8:9], v[10:11], v[118:119]
	v_fma_f64 v[104:105], v[136:137], v[104:105], v[18:19]
	ds_read_b64 v[114:115], v161
	ds_read_b64 v[118:119], v160
	v_fma_f64 v[10:11], v[10:11], v[116:117], -v[34:35]
	s_waitcnt vmcnt(6) lgkmcnt(2)
	v_mul_f64 v[18:19], v[166:167], v[130:131]
	v_fma_f64 v[96:97], v[138:139], v[116:117], v[8:9]
	v_mul_f64 v[8:9], v[6:7], v[130:131]
	s_waitcnt vmcnt(5)
	v_mul_f64 v[42:43], v[164:165], v[134:135]
	v_mul_f64 v[46:47], v[4:5], v[134:135]
	ds_read_b64 v[134:135], v198
	v_fma_f64 v[34:35], v[6:7], v[128:129], -v[18:19]
	v_fma_f64 v[6:7], v[166:167], v[128:129], v[8:9]
	v_fma_f64 v[106:107], v[4:5], v[132:133], -v[42:43]
	s_waitcnt vmcnt(4) lgkmcnt(2)
	v_mul_f64 v[4:5], v[114:115], v[142:143]
	s_waitcnt vmcnt(3) lgkmcnt(1)
	v_mul_f64 v[8:9], v[118:119], v[146:147]
	ds_read2_b64 v[128:131], v197 offset0:80 offset1:188
	v_fma_f64 v[80:81], v[164:165], v[132:133], v[46:47]
	v_mul_f64 v[18:19], v[112:113], v[142:143]
	v_mul_f64 v[138:139], v[86:87], v[146:147]
	v_add_f64 v[146:147], v[36:37], -v[40:41]
	s_waitcnt vmcnt(2) lgkmcnt(1)
	v_mul_f64 v[42:43], v[134:135], v[126:127]
	v_mul_f64 v[126:127], v[110:111], v[126:127]
	s_waitcnt vmcnt(1) lgkmcnt(0)
	v_mul_f64 v[132:133], v[128:129], v[154:155]
	v_fma_f64 v[46:47], v[112:113], v[140:141], -v[4:5]
	v_mul_f64 v[112:113], v[0:1], v[154:155]
	v_fma_f64 v[4:5], v[86:87], v[144:145], -v[8:9]
	v_fma_f64 v[8:9], v[114:115], v[140:141], v[18:19]
	v_fma_f64 v[116:117], v[110:111], v[124:125], -v[42:43]
	s_waitcnt vmcnt(0)
	v_mul_f64 v[114:115], v[130:131], v[158:159]
	v_mul_f64 v[136:137], v[2:3], v[158:159]
	v_fma_f64 v[18:19], v[0:1], v[152:153], -v[132:133]
	v_fma_f64 v[0:1], v[134:135], v[124:125], v[126:127]
	v_fma_f64 v[110:111], v[128:129], v[152:153], v[112:113]
	v_add_f64 v[42:43], v[4:5], -v[44:45]
	v_add_f64 v[152:153], v[4:5], v[36:37]
	v_add_f64 v[128:129], v[46:47], -v[26:27]
	v_add_f64 v[134:135], v[34:35], -v[30:31]
	;; [unrolled: 1-line block ×4, first 2 shown]
	v_add_f64 v[126:127], v[26:27], v[30:31]
	v_add_f64 v[112:113], v[98:99], -v[88:89]
	v_add_f64 v[142:143], v[46:47], v[34:35]
	v_add_f64 v[209:210], v[4:5], -v[36:37]
	v_add_f64 v[124:125], v[116:117], v[46:47]
	v_fma_f64 v[2:3], v[2:3], v[156:157], -v[114:115]
	v_fma_f64 v[86:87], v[130:131], v[156:157], v[136:137]
	v_fma_f64 v[114:115], v[118:119], v[144:145], v[138:139]
	v_add_f64 v[136:137], v[6:7], -v[14:15]
	v_add_f64 v[118:119], v[44:45], v[40:41]
	v_add_f64 v[144:145], v[40:41], -v[36:37]
	v_add_f64 v[130:131], v[26:27], -v[46:47]
	v_add_f64 v[42:43], v[42:43], v[146:147]
	v_add_f64 v[146:147], v[30:31], -v[34:35]
	v_fma_f64 v[138:139], v[152:153], -0.5, v[108:109]
	v_add_f64 v[134:135], v[128:129], v[134:135]
	v_fma_f64 v[126:127], v[126:127], -0.5, v[116:117]
	v_add_f64 v[46:47], v[46:47], -v[34:35]
	v_fma_f64 v[116:117], v[142:143], -0.5, v[116:117]
	v_add_f64 v[142:143], v[22:23], -v[14:15]
	v_add_f64 v[124:125], v[124:125], v[26:27]
	v_add_f64 v[26:27], v[26:27], -v[30:31]
	v_add_f64 v[128:129], v[114:115], -v[94:95]
	v_add_f64 v[152:153], v[132:133], v[136:137]
	v_add_f64 v[132:133], v[22:23], -v[8:9]
	v_add_f64 v[144:145], v[140:141], v[144:145]
	v_add_f64 v[136:137], v[14:15], -v[6:7]
	v_fma_f64 v[118:119], v[118:119], -0.5, v[108:109]
	v_add_f64 v[140:141], v[130:131], v[146:147]
	v_fma_f64 v[130:131], v[112:113], s[0:1], v[138:139]
	v_fma_f64 v[138:139], v[112:113], s[18:19], v[138:139]
	v_add_f64 v[124:125], v[124:125], v[30:31]
	v_add_f64 v[136:137], v[132:133], v[136:137]
	v_add_f64 v[132:133], v[8:9], -v[6:7]
	v_fma_f64 v[30:31], v[128:129], s[18:19], v[118:119]
	v_fma_f64 v[118:119], v[128:129], s[0:1], v[118:119]
	;; [unrolled: 1-line block ×6, first 2 shown]
	v_add_f64 v[34:35], v[124:125], v[34:35]
	v_fma_f64 v[130:131], v[132:133], s[18:19], v[126:127]
	v_fma_f64 v[126:127], v[132:133], s[0:1], v[126:127]
	;; [unrolled: 1-line block ×4, first 2 shown]
	v_add_f64 v[128:129], v[8:9], v[6:7]
	v_add_f64 v[132:133], v[22:23], v[14:15]
	v_fma_f64 v[160:161], v[142:143], s[16:17], v[130:131]
	v_fma_f64 v[126:127], v[142:143], s[14:15], v[126:127]
	;; [unrolled: 1-line block ×6, first 2 shown]
	v_fma_f64 v[128:129], v[128:129], -0.5, v[0:1]
	v_fma_f64 v[132:133], v[132:133], -0.5, v[0:1]
	v_add_f64 v[0:1], v[0:1], v[8:9]
	v_fma_f64 v[124:125], v[42:43], s[20:21], v[142:143]
	v_fma_f64 v[142:143], v[144:145], s[20:21], v[154:155]
	v_mov_b32_e32 v154, 0x2d0
	v_fma_f64 v[42:43], v[42:43], s[20:21], v[112:113]
	v_fma_f64 v[156:157], v[26:27], s[18:19], v[128:129]
	;; [unrolled: 1-line block ×5, first 2 shown]
	v_add_f64 v[0:1], v[0:1], v[22:23]
	v_fma_f64 v[156:157], v[46:47], s[14:15], v[156:157]
	v_fma_f64 v[30:31], v[26:27], s[14:15], v[158:159]
	;; [unrolled: 1-line block ×3, first 2 shown]
	v_add_f64 v[26:27], v[108:109], v[4:5]
	v_fma_f64 v[46:47], v[46:47], s[16:17], v[128:129]
	v_fma_f64 v[128:129], v[134:135], s[20:21], v[126:127]
	v_mul_f64 v[126:127], v[130:131], s[20:21]
	v_add_f64 v[158:159], v[100:101], -v[104:105]
	v_add_f64 v[0:1], v[0:1], v[14:15]
	v_fma_f64 v[132:133], v[136:137], s[20:21], v[156:157]
	v_add_f64 v[156:157], v[20:21], -v[12:13]
	v_fma_f64 v[140:141], v[152:153], s[20:21], v[118:119]
	v_add_f64 v[108:109], v[26:27], v[44:45]
	v_fma_f64 v[26:27], v[152:153], s[20:21], v[30:31]
	v_fma_f64 v[30:31], v[134:135], s[20:21], v[160:161]
	;; [unrolled: 1-line block ×3, first 2 shown]
	v_mul_f64 v[118:119], v[128:129], s[22:23]
	v_fma_f64 v[134:135], v[144:145], s[20:21], v[146:147]
	v_mul_u32_u24_sdwa v144, v150, v154 dst_sel:DWORD dst_unused:UNUSED_PAD src0_sel:WORD_0 src1_sel:DWORD
	v_lshlrev_b32_sdwa v145, v201, v151 dst_sel:DWORD dst_unused:UNUSED_PAD src0_sel:DWORD src1_sel:BYTE_0
	v_add_f64 v[217:218], v[0:1], v[6:7]
	v_add3_u32 v206, 0, v144, v145
	ds_read_b64 v[144:145], v182
	v_mul_f64 v[46:47], v[132:133], s[18:19]
	v_add_f64 v[108:109], v[108:109], v[40:41]
	v_mul_f64 v[116:117], v[26:27], s[16:17]
	v_fma_f64 v[126:127], v[136:137], s[18:19], -v[126:127]
	v_fma_f64 v[112:113], v[140:141], s[16:17], -v[118:119]
	v_fma_f64 v[46:47], v[138:139], s[20:21], v[46:47]
	v_add_f64 v[108:109], v[108:109], v[36:37]
	v_fma_f64 v[116:117], v[30:31], s[22:23], v[116:117]
	v_add_f64 v[150:151], v[142:143], v[126:127]
	v_add_f64 v[152:153], v[42:43], v[112:113]
	v_add_f64 v[126:127], v[142:143], -v[126:127]
	v_add_f64 v[42:43], v[42:43], -v[112:113]
	v_add_f64 v[112:113], v[70:71], v[72:73]
	v_add_f64 v[142:143], v[28:29], -v[20:21]
	v_add_f64 v[118:119], v[108:109], v[34:35]
	v_add_f64 v[146:147], v[124:125], v[116:117]
	v_add_f64 v[34:35], v[108:109], -v[34:35]
	v_add_f64 v[108:109], v[134:135], v[46:47]
	v_add_f64 v[116:117], v[124:125], -v[116:117]
	ds_read_b64 v[124:125], v186
	v_add_f64 v[46:47], v[134:135], -v[46:47]
	ds_read_b64 v[134:135], v185
	s_waitcnt lgkmcnt(0)
	s_barrier
	buffer_gl0_inv
	ds_write2_b64 v206, v[126:127], v[42:43] offset0:72 offset1:81
	v_add_f64 v[126:127], v[66:67], -v[62:63]
	v_fma_f64 v[112:113], v[112:113], -0.5, v[84:85]
	v_add_f64 v[42:43], v[38:39], v[28:29]
	v_add_f64 v[4:5], v[144:145], v[114:115]
	ds_write2_b64 v206, v[118:119], v[146:147] offset1:9
	v_add_f64 v[118:119], v[78:79], -v[70:71]
	ds_write2_b64 v206, v[108:109], v[150:151] offset0:18 offset1:27
	v_add_f64 v[108:109], v[74:75], -v[72:73]
	ds_write2_b64 v206, v[152:153], v[34:35] offset0:36 offset1:45
	v_add_f64 v[34:35], v[18:19], -v[12:13]
	v_add_f64 v[146:147], v[82:83], -v[100:101]
	ds_write2_b64 v206, v[116:117], v[46:47] offset0:54 offset1:63
	v_add_f64 v[46:47], v[110:111], -v[104:105]
	v_mul_u32_u24_sdwa v151, v149, v154 dst_sel:DWORD dst_unused:UNUSED_PAD src0_sel:WORD_0 src1_sel:DWORD
	v_add_f64 v[149:150], v[20:21], v[12:13]
	v_add_f64 v[152:153], v[58:59], -v[60:61]
	v_add_f64 v[154:155], v[28:29], -v[18:19]
	v_add_f64 v[116:117], v[84:85], v[78:79]
	v_add_f64 v[42:43], v[42:43], v[20:21]
	v_add_f64 v[20:21], v[20:21], -v[28:29]
	v_add_f64 v[28:29], v[28:29], v[18:19]
	v_add_f64 v[4:5], v[4:5], v[98:99]
	;; [unrolled: 1-line block ×5, first 2 shown]
	v_fma_f64 v[142:143], v[126:127], s[18:19], v[112:113]
	v_fma_f64 v[112:113], v[126:127], s[0:1], v[112:113]
	v_add_f64 v[46:47], v[146:147], v[46:47]
	v_lshlrev_b32_sdwa v146, v201, v148 dst_sel:DWORD dst_unused:UNUSED_PAD src0_sel:DWORD src1_sel:BYTE_0
	v_fma_f64 v[148:149], v[149:150], -0.5, v[38:39]
	v_add_f64 v[116:117], v[116:117], v[70:71]
	v_add3_u32 v207, 0, v151, v146
	v_add_f64 v[150:151], v[82:83], -v[110:111]
	v_add_f64 v[42:43], v[42:43], v[12:13]
	v_add_f64 v[12:13], v[12:13], -v[18:19]
	v_fma_f64 v[28:29], v[28:29], -0.5, v[38:39]
	v_add_f64 v[38:39], v[104:105], -v[110:111]
	v_add_f64 v[4:5], v[4:5], v[88:89]
	v_fma_f64 v[118:119], v[118:119], -0.5, v[76:77]
	v_fma_f64 v[146:147], v[152:153], s[16:17], v[142:143]
	v_fma_f64 v[112:113], v[152:153], s[14:15], v[112:113]
	v_add_f64 v[116:117], v[116:117], v[72:73]
	v_fma_f64 v[160:161], v[150:151], s[18:19], v[148:149]
	v_add_f64 v[42:43], v[42:43], v[18:19]
	v_add_f64 v[18:19], v[78:79], v[74:75]
	;; [unrolled: 1-line block ×3, first 2 shown]
	v_add_f64 v[20:21], v[100:101], -v[82:83]
	v_add_f64 v[221:222], v[4:5], v[94:95]
	v_fma_f64 v[142:143], v[154:155], s[0:1], v[118:119]
	v_fma_f64 v[164:165], v[108:109], s[20:21], v[146:147]
	v_add_f64 v[116:117], v[116:117], v[74:75]
	v_fma_f64 v[160:161], v[158:159], s[16:17], v[160:161]
	v_fma_f64 v[18:19], v[18:19], -0.5, v[84:85]
	v_add_f64 v[84:85], v[70:71], -v[78:79]
	v_add_f64 v[20:21], v[20:21], v[38:39]
	v_fma_f64 v[38:39], v[158:159], s[0:1], v[28:29]
	v_fma_f64 v[28:29], v[158:159], s[18:19], v[28:29]
	v_add_f64 v[70:71], v[70:71], -v[72:73]
	v_add_f64 v[225:226], v[221:222], v[217:218]
	v_fma_f64 v[142:143], v[156:157], s[14:15], v[142:143]
	v_add_f64 v[166:167], v[116:117], v[42:43]
	v_fma_f64 v[146:147], v[34:35], s[20:21], v[160:161]
	v_fma_f64 v[38:39], v[150:151], s[16:17], v[38:39]
	;; [unrolled: 1-line block ×4, first 2 shown]
	v_mul_f64 v[160:161], v[142:143], s[16:17]
	v_fma_f64 v[160:161], v[146:147], s[22:23], v[160:161]
	v_add_f64 v[168:169], v[164:165], v[160:161]
	ds_write2_b64 v207, v[166:167], v[168:169] offset1:9
	v_add_f64 v[166:167], v[72:73], -v[74:75]
	v_add_f64 v[168:169], v[90:91], -v[96:97]
	;; [unrolled: 1-line block ×5, first 2 shown]
	v_add_f64 v[84:85], v[84:85], v[166:167]
	v_fma_f64 v[166:167], v[150:151], s[0:1], v[148:149]
	v_fma_f64 v[148:149], v[152:153], s[0:1], v[18:19]
	;; [unrolled: 1-line block ×4, first 2 shown]
	v_add_f64 v[72:73], v[72:73], v[78:79]
	v_add_f64 v[78:79], v[58:59], v[60:61]
	v_fma_f64 v[148:149], v[126:127], s[16:17], v[148:149]
	v_fma_f64 v[18:19], v[126:127], s[14:15], v[18:19]
	v_fma_f64 v[78:79], v[78:79], -0.5, v[134:135]
	v_fma_f64 v[126:127], v[84:85], s[20:21], v[148:149]
	v_fma_f64 v[148:149], v[12:13], s[20:21], v[28:29]
	v_add_f64 v[28:29], v[82:83], v[110:111]
	v_fma_f64 v[18:19], v[84:85], s[20:21], v[18:19]
	v_fma_f64 v[12:13], v[158:159], s[14:15], v[166:167]
	;; [unrolled: 1-line block ×3, first 2 shown]
	v_add_f64 v[166:167], v[54:55], -v[86:87]
	v_fma_f64 v[28:29], v[28:29], -0.5, v[76:77]
	v_add_f64 v[76:77], v[76:77], v[82:83]
	v_fma_f64 v[152:153], v[34:35], s[20:21], v[12:13]
	v_fma_f64 v[84:85], v[156:157], s[16:17], v[84:85]
	;; [unrolled: 1-line block ×3, first 2 shown]
	v_add_f64 v[112:113], v[90:91], v[96:97]
	v_mul_u32_u24_e32 v108, 0x2d0, v162
	v_lshlrev_b32_sdwa v109, v201, v163 dst_sel:DWORD dst_unused:UNUSED_PAD src0_sel:DWORD src1_sel:WORD_0
	v_add_f64 v[34:35], v[116:117], -v[42:43]
	v_add_f64 v[116:117], v[24:25], -v[2:3]
	;; [unrolled: 1-line block ×3, first 2 shown]
	v_add_f64 v[82:83], v[66:67], v[62:63]
	v_add3_u32 v208, 0, v108, v109
	v_add_f64 v[108:109], v[16:17], v[10:11]
	v_fma_f64 v[38:39], v[156:157], s[18:19], v[28:29]
	v_fma_f64 v[28:29], v[156:157], s[0:1], v[28:29]
	;; [unrolled: 1-line block ×3, first 2 shown]
	v_fma_f64 v[112:113], v[112:113], -0.5, v[50:51]
	v_fma_f64 v[82:83], v[82:83], -0.5, v[134:135]
	v_add_f64 v[134:135], v[134:135], v[66:67]
	v_fma_f64 v[108:109], v[108:109], -0.5, v[32:33]
	v_fma_f64 v[38:39], v[154:155], s[14:15], v[38:39]
	v_fma_f64 v[28:29], v[154:155], s[16:17], v[28:29]
	;; [unrolled: 1-line block ×3, first 2 shown]
	v_add_f64 v[134:135], v[134:135], v[58:59]
	v_fma_f64 v[160:161], v[166:167], s[18:19], v[108:109]
	v_add_f64 v[58:59], v[58:59], -v[66:67]
	v_add_f64 v[66:67], v[76:77], v[100:101]
	v_fma_f64 v[76:77], v[74:75], s[0:1], v[78:79]
	v_fma_f64 v[78:79], v[74:75], s[18:19], v[78:79]
	;; [unrolled: 1-line block ×5, first 2 shown]
	v_mul_f64 v[28:29], v[148:149], s[20:21]
	v_mul_f64 v[38:39], v[152:153], s[22:23]
	v_fma_f64 v[162:163], v[168:169], s[16:17], v[160:161]
	v_add_f64 v[66:67], v[66:67], v[104:105]
	v_fma_f64 v[76:77], v[70:71], s[14:15], v[76:77]
	v_fma_f64 v[78:79], v[70:71], s[16:17], v[78:79]
	;; [unrolled: 1-line block ×3, first 2 shown]
	v_add_f64 v[82:83], v[134:135], v[60:61]
	v_add_f64 v[60:61], v[60:61], -v[62:63]
	v_mul_f64 v[20:21], v[154:155], s[18:19]
	v_fma_f64 v[28:29], v[156:157], s[18:19], -v[28:29]
	v_fma_f64 v[38:39], v[158:159], s[16:17], -v[38:39]
	v_add_f64 v[66:67], v[66:67], v[110:111]
	v_fma_f64 v[70:71], v[74:75], s[16:17], v[70:71]
	v_add_f64 v[62:63], v[82:83], v[62:63]
	v_add_f64 v[58:59], v[58:59], v[60:61]
	v_fma_f64 v[60:61], v[74:75], s[14:15], v[100:101]
	v_fma_f64 v[20:21], v[150:151], s[20:21], v[20:21]
	;; [unrolled: 1-line block ×3, first 2 shown]
	v_add_f64 v[84:85], v[18:19], v[28:29]
	v_add_f64 v[18:19], v[18:19], -v[28:29]
	v_add_f64 v[28:29], v[12:13], v[38:39]
	v_add_f64 v[12:13], v[12:13], -v[38:39]
	v_add_f64 v[38:39], v[68:69], v[102:103]
	v_fma_f64 v[72:73], v[72:73], s[20:21], v[78:79]
	v_add_f64 v[76:77], v[52:53], -v[56:57]
	v_add_f64 v[78:79], v[80:81], -v[92:93]
	v_add_f64 v[82:83], v[52:53], v[80:81]
	v_add_f64 v[100:101], v[124:125], v[52:53]
	v_fma_f64 v[60:61], v[58:59], s[20:21], v[60:61]
	v_add_f64 v[46:47], v[126:127], v[20:21]
	v_add_f64 v[20:21], v[126:127], -v[20:21]
	v_add_f64 v[126:127], v[16:17], -v[10:11]
	v_fma_f64 v[58:59], v[58:59], s[20:21], v[70:71]
	v_fma_f64 v[38:39], v[38:39], -0.5, v[48:49]
	v_add_f64 v[76:77], v[76:77], v[78:79]
	v_add_f64 v[78:79], v[56:57], v[92:93]
	v_fma_f64 v[82:83], v[82:83], -0.5, v[124:125]
	v_add_f64 v[100:101], v[100:101], v[56:57]
	ds_write2_b64 v207, v[46:47], v[84:85] offset0:18 offset1:27
	v_add_f64 v[46:47], v[64:65], -v[68:69]
	v_add_f64 v[84:85], v[106:107], -v[102:103]
	ds_write2_b64 v207, v[28:29], v[34:35] offset0:36 offset1:45
	ds_write2_b64 v207, v[42:43], v[20:21] offset0:54 offset1:63
	;; [unrolled: 1-line block ×3, first 2 shown]
	v_add_f64 v[12:13], v[24:25], -v[16:17]
	v_add_f64 v[18:19], v[2:3], -v[10:11]
	v_add_f64 v[20:21], v[54:55], -v[90:91]
	v_add_f64 v[28:29], v[86:87], -v[96:97]
	v_add_f64 v[34:35], v[48:49], v[64:65]
	v_add_f64 v[42:43], v[52:53], -v[80:81]
	v_fma_f64 v[118:119], v[126:127], s[14:15], v[118:119]
	v_fma_f64 v[78:79], v[78:79], -0.5, v[124:125]
	v_add_f64 v[52:53], v[56:57], -v[52:53]
	v_add_f64 v[46:47], v[46:47], v[84:85]
	v_add_f64 v[84:85], v[32:33], v[24:25]
	;; [unrolled: 1-line block ×5, first 2 shown]
	v_fma_f64 v[28:29], v[42:43], s[18:19], v[38:39]
	v_add_f64 v[34:35], v[56:57], -v[92:93]
	v_add_f64 v[84:85], v[84:85], v[16:17]
	v_add_f64 v[16:17], v[16:17], -v[24:25]
	v_fma_f64 v[162:163], v[12:13], s[20:21], v[162:163]
	v_fma_f64 v[160:161], v[18:19], s[20:21], v[118:119]
	v_add_f64 v[20:21], v[20:21], v[102:103]
	v_fma_f64 v[28:29], v[34:35], s[16:17], v[28:29]
	v_add_f64 v[84:85], v[84:85], v[10:11]
	v_mul_f64 v[118:119], v[160:161], s[16:17]
	v_add_f64 v[20:21], v[20:21], v[106:107]
	v_fma_f64 v[28:29], v[46:47], s[20:21], v[28:29]
	v_add_f64 v[84:85], v[84:85], v[2:3]
	v_fma_f64 v[118:119], v[162:163], s[22:23], v[118:119]
	v_add_f64 v[164:165], v[20:21], v[84:85]
	v_add_f64 v[170:171], v[28:29], v[118:119]
	ds_write2_b64 v208, v[164:165], v[170:171] offset1:9
	v_add_f64 v[164:165], v[64:65], v[106:107]
	v_add_f64 v[170:171], v[102:103], -v[106:107]
	v_fma_f64 v[48:49], v[164:165], -0.5, v[48:49]
	v_add_f64 v[164:165], v[68:69], -v[64:65]
	v_add_f64 v[64:65], v[64:65], -v[106:107]
	;; [unrolled: 1-line block ×3, first 2 shown]
	v_add_f64 v[164:165], v[164:165], v[170:171]
	v_add_f64 v[170:171], v[24:25], v[2:3]
	v_add_f64 v[2:3], v[10:11], -v[2:3]
	v_fma_f64 v[10:11], v[34:35], s[0:1], v[48:49]
	v_fma_f64 v[24:25], v[34:35], s[18:19], v[48:49]
	;; [unrolled: 1-line block ×3, first 2 shown]
	v_fma_f64 v[32:33], v[170:171], -0.5, v[32:33]
	v_add_f64 v[2:3], v[16:17], v[2:3]
	v_fma_f64 v[10:11], v[42:43], s[16:17], v[10:11]
	v_fma_f64 v[24:25], v[42:43], s[14:15], v[24:25]
	;; [unrolled: 1-line block ×12, first 2 shown]
	v_add_f64 v[16:17], v[90:91], -v[54:55]
	v_add_f64 v[32:33], v[96:97], -v[86:87]
	v_fma_f64 v[2:3], v[166:167], s[0:1], v[108:109]
	v_fma_f64 v[108:109], v[116:117], s[18:19], v[112:113]
	v_mul_f64 v[102:103], v[164:165], s[0:1]
	v_add_f64 v[16:17], v[16:17], v[32:33]
	v_fma_f64 v[32:33], v[42:43], s[0:1], v[38:39]
	v_add_f64 v[38:39], v[54:55], v[86:87]
	v_fma_f64 v[2:3], v[168:169], s[14:15], v[2:3]
	v_fma_f64 v[32:33], v[34:35], s[14:15], v[32:33]
	v_fma_f64 v[38:39], v[38:39], -0.5, v[50:51]
	v_fma_f64 v[34:35], v[126:127], s[16:17], v[108:109]
	v_fma_f64 v[166:167], v[12:13], s[20:21], v[2:3]
	v_mul_f64 v[12:13], v[48:49], s[20:21]
	v_add_f64 v[50:51], v[50:51], v[54:55]
	v_fma_f64 v[54:55], v[64:65], s[0:1], v[78:79]
	v_fma_f64 v[78:79], v[68:69], s[18:19], v[82:83]
	;; [unrolled: 1-line block ×6, first 2 shown]
	v_mul_f64 v[18:19], v[166:167], s[22:23]
	v_add_f64 v[50:51], v[50:51], v[90:91]
	v_add_f64 v[90:91], v[92:93], -v[80:81]
	v_fma_f64 v[54:55], v[68:69], s[14:15], v[54:55]
	v_fma_f64 v[68:69], v[68:69], s[0:1], v[82:83]
	v_add_f64 v[82:83], v[100:101], v[92:93]
	v_mul_f64 v[92:93], v[150:151], s[0:1]
	v_mul_f64 v[100:101], v[158:159], s[22:23]
	v_fma_f64 v[78:79], v[64:65], s[14:15], v[78:79]
	v_fma_f64 v[42:43], v[116:117], s[14:15], v[42:43]
	;; [unrolled: 1-line block ×3, first 2 shown]
	v_mul_f64 v[110:111], v[170:171], s[22:23]
	v_fma_f64 v[18:19], v[170:171], s[16:17], -v[18:19]
	v_add_f64 v[50:51], v[50:51], v[96:97]
	v_add_f64 v[52:53], v[52:53], v[90:91]
	v_mul_f64 v[90:91], v[146:147], s[14:15]
	v_mul_f64 v[96:97], v[156:157], s[20:21]
	v_fma_f64 v[64:65], v[64:65], s[16:17], v[68:69]
	v_mul_f64 v[68:69], v[162:163], s[14:15]
	v_fma_f64 v[70:71], v[154:155], s[20:21], v[92:93]
	v_add_f64 v[80:81], v[82:83], v[80:81]
	v_fma_f64 v[54:55], v[76:77], s[20:21], v[54:55]
	v_fma_f64 v[168:169], v[16:17], s[20:21], v[42:43]
	;; [unrolled: 1-line block ×3, first 2 shown]
	v_add_f64 v[16:17], v[20:21], -v[84:85]
	v_add_f64 v[20:21], v[98:99], v[88:89]
	v_add_f64 v[50:51], v[50:51], v[86:87]
	v_fma_f64 v[78:79], v[52:53], s[20:21], v[78:79]
	v_fma_f64 v[90:91], v[142:143], s[22:23], v[90:91]
	v_fma_f64 v[92:93], v[148:149], s[0:1], -v[96:97]
	v_fma_f64 v[96:97], v[152:153], s[14:15], -v[100:101]
	v_fma_f64 v[52:53], v[52:53], s[20:21], v[64:65]
	v_fma_f64 v[64:65], v[160:161], s[22:23], v[68:69]
	v_fma_f64 v[76:77], v[166:167], s[14:15], -v[110:111]
	v_mul_f64 v[8:9], v[168:169], s[18:19]
	v_fma_f64 v[12:13], v[172:173], s[18:19], -v[12:13]
	v_mul_f64 v[104:105], v[172:173], s[20:21]
	v_fma_f64 v[211:212], v[20:21], -0.5, v[144:145]
	v_add_f64 v[20:21], v[28:29], -v[118:119]
	v_add_f64 v[28:29], v[94:95], -v[88:89]
	;; [unrolled: 1-line block ×3, first 2 shown]
	v_fma_f64 v[68:69], v[168:169], s[20:21], v[102:103]
	v_add_f64 v[100:101], v[72:73], v[96:97]
	v_add_f64 v[72:73], v[72:73], -v[96:97]
	v_fma_f64 v[8:9], v[164:165], s[20:21], v[8:9]
	v_fma_f64 v[48:49], v[48:49], s[0:1], -v[104:105]
	v_fma_f64 v[14:15], v[209:210], s[0:1], v[211:212]
	v_add_f64 v[102:103], v[78:79], v[68:69]
	v_add_f64 v[22:23], v[10:11], v[8:9]
	v_add_f64 v[8:9], v[10:11], -v[8:9]
	v_add_f64 v[10:11], v[24:25], v[12:13]
	v_add_f64 v[12:13], v[24:25], -v[12:13]
	;; [unrolled: 2-line block ×3, first 2 shown]
	v_add_f64 v[18:19], v[114:115], -v[98:99]
	v_add_f64 v[98:99], v[98:99], -v[114:115]
	v_add_f64 v[114:115], v[114:115], v[94:95]
	v_fma_f64 v[14:15], v[213:214], s[14:15], v[14:15]
	ds_write2_b64 v208, v[22:23], v[10:11] offset0:18 offset1:27
	ds_write2_b64 v208, v[24:25], v[16:17] offset0:36 offset1:45
	;; [unrolled: 1-line block ×4, first 2 shown]
	s_waitcnt lgkmcnt(0)
	s_barrier
	v_add_f64 v[215:216], v[18:19], v[28:29]
	v_add_f64 v[88:89], v[98:99], v[88:89]
	v_fma_f64 v[94:95], v[114:115], -0.5, v[144:145]
	v_mul_f64 v[114:115], v[136:137], s[20:21]
	v_mul_f64 v[18:19], v[30:31], s[14:15]
	buffer_gl0_inv
	v_add_f64 v[104:105], v[52:53], v[48:49]
	v_add_f64 v[52:53], v[52:53], -v[48:49]
	v_mul_lo_u16 v49, 0xb7, v203
	v_add_nc_u32_e32 v48, 0xffffffa6, v174
	v_fma_f64 v[223:224], v[215:216], s[20:21], v[14:15]
	v_fma_f64 v[98:99], v[213:214], s[18:19], v[94:95]
	;; [unrolled: 1-line block ×3, first 2 shown]
	v_fma_f64 v[114:115], v[130:131], s[0:1], -v[114:115]
	v_fma_f64 v[219:220], v[26:27], s[22:23], v[18:19]
	ds_read_b64 v[118:119], v182
	ds_read_b64 v[116:117], v185
	;; [unrolled: 1-line block ×6, first 2 shown]
	ds_read2_b64 v[44:47], v183 offset0:56 offset1:164
	ds_read2_b64 v[12:15], v194 offset0:104 offset1:212
	;; [unrolled: 1-line block ×12, first 2 shown]
	s_waitcnt lgkmcnt(0)
	s_barrier
	buffer_gl0_inv
	v_fma_f64 v[98:99], v[209:210], s[14:15], v[98:99]
	v_fma_f64 v[94:95], v[209:210], s[16:17], v[94:95]
	v_add_f64 v[227:228], v[223:224], v[219:220]
	v_add_f64 v[82:83], v[223:224], -v[219:220]
	v_fma_f64 v[98:99], v[88:89], s[20:21], v[98:99]
	v_fma_f64 v[88:89], v[88:89], s[20:21], v[94:95]
	v_mul_f64 v[94:95], v[138:139], s[0:1]
	v_cmp_gt_u32_e64 s0, 0x5a, v174
	ds_write2_b64 v206, v[225:226], v[227:228] offset1:9
	v_cndmask_b32_e64 v96, v48, v174, s0
	v_mul_i32_i24_e32 v48, 5, v96
	v_fma_f64 v[94:95], v[132:133], s[20:21], v[94:95]
	v_add_f64 v[132:133], v[88:89], v[114:115]
	v_add_f64 v[88:89], v[88:89], -v[114:115]
	v_add_f64 v[130:131], v[98:99], v[94:95]
	v_add_f64 v[86:87], v[98:99], -v[94:95]
	;; [unrolled: 2-line block ×8, first 2 shown]
	v_add_f64 v[64:65], v[78:79], -v[68:69]
	v_add_f64 v[68:69], v[56:57], v[76:77]
	v_add_f64 v[56:57], v[56:57], -v[76:77]
	ds_write2_b64 v206, v[130:131], v[132:133] offset0:18 offset1:27
	v_fma_f64 v[130:131], v[209:210], s[18:19], v[211:212]
	v_mul_f64 v[132:133], v[140:141], s[22:23]
	v_fma_f64 v[130:131], v[213:214], s[16:17], v[130:131]
	v_fma_f64 v[128:129], v[128:129], s[14:15], -v[132:133]
	v_add_f64 v[132:133], v[221:222], -v[217:218]
	v_fma_f64 v[130:131], v[215:216], s[20:21], v[130:131]
	v_add_f64 v[106:107], v[130:131], v[128:129]
	v_add_f64 v[94:95], v[130:131], -v[128:129]
	v_lshrrev_b16 v129, 14, v49
	v_mov_b32_e32 v49, 0
	ds_write2_b64 v206, v[106:107], v[132:133] offset0:36 offset1:45
	ds_write2_b64 v206, v[82:83], v[86:87] offset0:54 offset1:63
	;; [unrolled: 1-line block ×3, first 2 shown]
	ds_write2_b64 v207, v[98:99], v[66:67] offset1:9
	ds_write2_b64 v207, v[90:91], v[70:71] offset0:18 offset1:27
	ds_write2_b64 v207, v[100:101], v[62:63] offset0:36 offset1:45
	;; [unrolled: 1-line block ×3, first 2 shown]
	v_mul_lo_u16 v60, 0x5a, v129
	ds_write2_b64 v207, v[58:59], v[72:73] offset0:72 offset1:81
	ds_write2_b64 v208, v[92:93], v[80:81] offset1:9
	ds_write2_b64 v208, v[102:103], v[104:105] offset0:18 offset1:27
	v_lshlrev_b64 v[58:59], 4, v[48:49]
	ds_write2_b64 v208, v[68:69], v[50:51] offset0:36 offset1:45
	ds_write2_b64 v208, v[54:55], v[64:65] offset0:54 offset1:63
	ds_write2_b64 v208, v[52:53], v[56:57] offset0:72 offset1:81
	s_waitcnt lgkmcnt(0)
	v_sub_nc_u16 v128, v175, v60
	s_barrier
	buffer_gl0_inv
	v_add_co_u32 v106, s0, s12, v58
	v_mul_u32_u24_sdwa v48, v128, v202 dst_sel:DWORD dst_unused:UNUSED_PAD src0_sel:BYTE_0 src1_sel:DWORD
	v_add_co_ci_u32_e64 v107, s0, s13, v59, s0
	v_mov_b32_e32 v54, 0x2d83
	v_cmp_lt_u32_e64 s0, 0x59, v174
	v_lshlrev_b32_e32 v48, 4, v48
	global_load_dwordx4 v[50:53], v[106:107], off offset:1408
	v_lshlrev_b32_sdwa v128, v201, v128 dst_sel:DWORD dst_unused:UNUSED_PAD src0_sel:DWORD src1_sel:BYTE_0
	v_mul_u32_u24_sdwa v55, v176, v54 dst_sel:DWORD dst_unused:UNUSED_PAD src0_sel:WORD_0 src1_sel:DWORD
	s_clause 0x2
	global_load_dwordx4 v[56:59], v48, s[12:13] offset:1408
	global_load_dwordx4 v[60:63], v[106:107], off offset:1440
	global_load_dwordx4 v[64:67], v48, s[12:13] offset:1440
	v_lshrrev_b32_e32 v133, 20, v55
	v_mul_lo_u16 v55, 0x5a, v133
	v_mul_u32_u24_e32 v133, 0x10e0, v133
	v_sub_nc_u16 v134, v176, v55
	v_mul_u32_u24_sdwa v55, v134, v202 dst_sel:DWORD dst_unused:UNUSED_PAD src0_sel:WORD_0 src1_sel:DWORD
	v_lshlrev_b32_sdwa v134, v201, v134 dst_sel:DWORD dst_unused:UNUSED_PAD src0_sel:DWORD src1_sel:WORD_0
	v_lshlrev_b32_e32 v55, 4, v55
	s_clause 0x5
	global_load_dwordx4 v[68:71], v48, s[12:13] offset:1392
	global_load_dwordx4 v[72:75], v55, s[12:13] offset:1392
	;; [unrolled: 1-line block ×6, first 2 shown]
	v_mul_u32_u24_sdwa v48, v177, v54 dst_sel:DWORD dst_unused:UNUSED_PAD src0_sel:WORD_0 src1_sel:DWORD
	global_load_dwordx4 v[139:142], v55, s[12:13] offset:1408
	v_add3_u32 v133, 0, v133, v134
	v_lshrrev_b32_e32 v131, 20, v48
	v_add_nc_u32_e32 v134, 0x400, v133
	v_mul_lo_u16 v48, 0x5a, v131
	v_mul_u32_u24_e32 v131, 0x10e0, v131
	v_sub_nc_u16 v132, v177, v48
	v_mul_u32_u24_sdwa v48, v132, v202 dst_sel:DWORD dst_unused:UNUSED_PAD src0_sel:WORD_0 src1_sel:DWORD
	v_lshlrev_b32_sdwa v132, v201, v132 dst_sel:DWORD dst_unused:UNUSED_PAD src0_sel:DWORD src1_sel:WORD_0
	v_lshlrev_b32_e32 v110, 4, v48
	s_clause 0x2
	global_load_dwordx4 v[143:146], v110, s[12:13] offset:1408
	global_load_dwordx4 v[147:150], v55, s[12:13] offset:1440
	;; [unrolled: 1-line block ×3, first 2 shown]
	ds_read2_b64 v[80:83], v183 offset0:56 offset1:164
	v_mul_u32_u24_sdwa v48, v178, v54 dst_sel:DWORD dst_unused:UNUSED_PAD src0_sel:WORD_0 src1_sel:DWORD
	global_load_dwordx4 v[155:158], v110, s[12:13] offset:1392
	ds_read2_b64 v[97:100], v184 offset0:112 offset1:220
	global_load_dwordx4 v[163:166], v[106:107], off offset:1424
	v_lshrrev_b32_e32 v48, 20, v48
	s_waitcnt vmcnt(15) lgkmcnt(1)
	v_mul_f64 v[54:55], v[80:81], v[52:53]
	v_mul_f64 v[94:95], v[44:45], v[52:53]
	v_mul_lo_u16 v52, 0x5a, v48
	v_mul_u32_u24_e32 v48, 0x10e0, v48
	s_waitcnt vmcnt(14)
	v_mul_f64 v[101:102], v[82:83], v[58:59]
	v_mul_f64 v[58:59], v[46:47], v[58:59]
	v_sub_nc_u16 v130, v178, v52
	v_mul_u32_u24_sdwa v52, v130, v202 dst_sel:DWORD dst_unused:UNUSED_PAD src0_sel:WORD_0 src1_sel:DWORD
	v_lshlrev_b32_sdwa v130, v201, v130 dst_sel:DWORD dst_unused:UNUSED_PAD src0_sel:DWORD src1_sel:WORD_0
	v_lshlrev_b32_e32 v111, 4, v52
	v_add3_u32 v48, 0, v48, v130
	v_fma_f64 v[52:53], v[44:45], v[50:51], -v[54:55]
	v_fma_f64 v[54:55], v[80:81], v[50:51], v[94:95]
	s_waitcnt vmcnt(13) lgkmcnt(0)
	v_mul_f64 v[50:51], v[97:98], v[62:63]
	global_load_dwordx4 v[159:162], v111, s[12:13] offset:1392
	v_fma_f64 v[44:45], v[46:47], v[56:57], -v[101:102]
	v_fma_f64 v[46:47], v[82:83], v[56:57], v[58:59]
	s_waitcnt vmcnt(13)
	v_mul_f64 v[58:59], v[99:100], v[66:67]
	v_mul_f64 v[62:63], v[40:41], v[62:63]
	ds_read2_b64 v[102:105], v204 offset0:136 offset1:244
	v_mul_f64 v[66:67], v[42:43], v[66:67]
	s_clause 0x1
	global_load_dwordx4 v[167:170], v111, s[12:13] offset:1408
	global_load_dwordx4 v[206:209], v111, s[12:13] offset:1424
	v_fma_f64 v[56:57], v[40:41], v[60:61], -v[50:51]
	v_fma_f64 v[40:41], v[42:43], v[64:65], -v[58:59]
	s_waitcnt vmcnt(14) lgkmcnt(0)
	v_mul_f64 v[58:59], v[102:103], v[70:71]
	v_mul_f64 v[70:71], v[36:37], v[70:71]
	s_waitcnt vmcnt(13)
	v_mul_f64 v[80:81], v[104:105], v[74:75]
	v_fma_f64 v[50:51], v[97:98], v[60:61], v[62:63]
	v_fma_f64 v[42:43], v[99:100], v[64:65], v[66:67]
	v_mul_f64 v[64:65], v[38:39], v[74:75]
	ds_read2_b64 v[60:63], v189 offset0:64 offset1:172
	v_fma_f64 v[100:101], v[36:37], v[68:69], -v[58:59]
	v_fma_f64 v[58:59], v[102:103], v[68:69], v[70:71]
	v_fma_f64 v[82:83], v[38:39], v[72:73], -v[80:81]
	s_waitcnt vmcnt(12)
	v_mul_f64 v[68:69], v[32:33], v[78:79]
	s_waitcnt lgkmcnt(0)
	v_mul_f64 v[38:39], v[60:61], v[78:79]
	v_fma_f64 v[36:37], v[104:105], v[72:73], v[64:65]
	ds_read2_b64 v[64:67], v190 offset0:120 offset1:228
	s_waitcnt vmcnt(11)
	v_mul_f64 v[70:71], v[62:63], v[88:89]
	v_mul_f64 v[72:73], v[34:35], v[88:89]
	v_fma_f64 v[104:105], v[32:33], v[76:77], -v[38:39]
	v_fma_f64 v[38:39], v[60:61], v[76:77], v[68:69]
	s_waitcnt vmcnt(10) lgkmcnt(0)
	v_mul_f64 v[32:33], v[64:65], v[92:93]
	v_mul_f64 v[60:61], v[28:29], v[92:93]
	global_load_dwordx4 v[92:95], v[106:107], off offset:1456
	v_fma_f64 v[98:99], v[34:35], v[86:87], -v[70:71]
	v_fma_f64 v[34:35], v[62:63], v[86:87], v[72:73]
	s_waitcnt vmcnt(10)
	v_mul_f64 v[62:63], v[66:67], v[137:138]
	global_load_dwordx4 v[86:89], v[106:107], off offset:1392
	ds_read2_b64 v[68:71], v187 offset0:16 offset1:124
	ds_read2_b64 v[76:79], v205 offset0:96 offset1:204
	v_fma_f64 v[124:125], v[28:29], v[90:91], -v[32:33]
	v_mul_f64 v[32:33], v[30:31], v[137:138]
	v_fma_f64 v[60:61], v[64:65], v[90:91], v[60:61]
	v_fma_f64 v[28:29], v[30:31], v[135:136], -v[62:63]
	s_waitcnt vmcnt(10) lgkmcnt(1)
	v_mul_f64 v[64:65], v[68:69], v[141:142]
	v_mul_f64 v[30:31], v[24:25], v[141:142]
	s_waitcnt vmcnt(8)
	v_mul_f64 v[62:63], v[20:21], v[149:150]
	v_fma_f64 v[32:33], v[66:67], v[135:136], v[32:33]
	global_load_dwordx4 v[135:138], v110, s[12:13] offset:1424
	v_fma_f64 v[66:67], v[24:25], v[139:140], -v[64:65]
	v_mul_f64 v[24:25], v[70:71], v[145:146]
	v_fma_f64 v[68:69], v[68:69], v[139:140], v[30:31]
	global_load_dwordx4 v[139:142], v111, s[12:13] offset:1440
	v_mul_f64 v[30:31], v[26:27], v[145:146]
	v_fma_f64 v[64:65], v[26:27], v[143:144], -v[24:25]
	ds_read2_b64 v[24:27], v188 offset0:72 offset1:180
	v_fma_f64 v[72:73], v[70:71], v[143:144], v[30:31]
	global_load_dwordx4 v[143:146], v110, s[12:13] offset:1456
	s_waitcnt lgkmcnt(0)
	v_mul_f64 v[30:31], v[24:25], v[149:150]
	v_fma_f64 v[62:63], v[24:25], v[147:148], v[62:63]
	s_waitcnt vmcnt(10)
	v_mul_f64 v[70:71], v[26:27], v[153:154]
	v_fma_f64 v[20:21], v[20:21], v[147:148], -v[30:31]
	global_load_dwordx4 v[147:150], v111, s[12:13] offset:1456
	v_fma_f64 v[74:75], v[22:23], v[151:152], -v[70:71]
	v_mul_f64 v[22:23], v[22:23], v[153:154]
	v_fma_f64 v[70:71], v[26:27], v[151:152], v[22:23]
	s_waitcnt vmcnt(10)
	v_mul_f64 v[22:23], v[76:77], v[157:158]
	v_mul_f64 v[26:27], v[16:17], v[157:158]
	ds_read2_b64 v[151:154], v194 offset0:104 offset1:212
	v_fma_f64 v[24:25], v[16:17], v[155:156], -v[22:23]
	v_fma_f64 v[22:23], v[76:77], v[155:156], v[26:27]
	s_waitcnt vmcnt(8)
	v_mul_f64 v[16:17], v[78:79], v[161:162]
	v_mul_f64 v[26:27], v[18:19], v[161:162]
	s_waitcnt vmcnt(7) lgkmcnt(0)
	v_mul_f64 v[30:31], v[151:152], v[169:170]
	v_mul_f64 v[80:81], v[12:13], v[169:170]
	v_add_nc_u32_e32 v169, 0x800, v48
	v_fma_f64 v[18:19], v[18:19], v[159:160], -v[16:17]
	v_fma_f64 v[76:77], v[78:79], v[159:160], v[26:27]
	v_mul_f64 v[16:17], v[153:154], v[165:166]
	v_mul_f64 v[26:27], v[14:15], v[165:166]
	ds_read2_b64 v[157:160], v196 offset0:24 offset1:132
	v_fma_f64 v[78:79], v[12:13], v[167:168], -v[30:31]
	v_fma_f64 v[80:81], v[151:152], v[167:168], v[80:81]
	v_add_nc_u32_e32 v168, 0x400, v48
	v_fma_f64 v[102:103], v[14:15], v[163:164], -v[16:17]
	v_fma_f64 v[14:15], v[153:154], v[163:164], v[26:27]
	ds_read2_b64 v[153:156], v195 offset0:32 offset1:140
	ds_read_b64 v[16:17], v200
	s_waitcnt vmcnt(5) lgkmcnt(1)
	v_mul_f64 v[12:13], v[155:156], v[94:95]
	v_mul_f64 v[26:27], v[6:7], v[94:95]
	s_waitcnt vmcnt(4) lgkmcnt(0)
	v_mul_f64 v[30:31], v[16:17], v[88:89]
	v_fma_f64 v[94:95], v[6:7], v[92:93], -v[12:13]
	v_fma_f64 v[6:7], v[155:156], v[92:93], v[26:27]
	v_mul_f64 v[12:13], v[126:127], v[88:89]
	v_fma_f64 v[106:107], v[126:127], v[86:87], -v[30:31]
	s_waitcnt vmcnt(3)
	v_mul_f64 v[26:27], v[157:158], v[137:138]
	v_mul_f64 v[88:89], v[8:9], v[137:138]
	v_fma_f64 v[16:17], v[16:17], v[86:87], v[12:13]
	v_add_f64 v[12:13], v[14:15], v[6:7]
	v_mul_f64 v[86:87], v[159:160], v[208:209]
	v_add_f64 v[92:93], v[102:103], v[94:95]
	v_add_f64 v[110:111], v[102:103], -v[94:95]
	v_add_f64 v[126:127], v[14:15], -v[6:7]
	v_add_f64 v[102:103], v[106:107], v[102:103]
	v_fma_f64 v[30:31], v[8:9], v[135:136], -v[26:27]
	v_mul_f64 v[8:9], v[10:11], v[208:209]
	v_fma_f64 v[90:91], v[157:158], v[135:136], v[88:89]
	v_fma_f64 v[114:115], v[12:13], -0.5, v[16:17]
	v_fma_f64 v[26:27], v[10:11], v[206:207], -v[86:87]
	s_waitcnt vmcnt(2)
	v_mul_f64 v[10:11], v[153:154], v[141:142]
	v_add_f64 v[12:13], v[52:53], v[56:57]
	v_fma_f64 v[86:87], v[92:93], -0.5, v[106:107]
	ds_read2_b64 v[135:138], v197 offset0:80 offset1:188
	v_add_f64 v[151:152], v[102:103], v[94:95]
	v_add_f64 v[14:15], v[16:17], v[14:15]
	;; [unrolled: 1-line block ×3, first 2 shown]
	v_fma_f64 v[88:89], v[159:160], v[206:207], v[8:9]
	v_fma_f64 v[8:9], v[110:111], s[6:7], v[114:115]
	v_fma_f64 v[92:93], v[4:5], v[139:140], -v[10:11]
	v_mul_f64 v[10:11], v[4:5], v[141:142]
	v_fma_f64 v[106:107], v[12:13], -0.5, v[118:119]
	v_add_f64 v[118:119], v[118:119], v[52:53]
	v_fma_f64 v[12:13], v[126:127], s[4:5], v[86:87]
	v_fma_f64 v[4:5], v[126:127], s[6:7], v[86:87]
	v_add_f64 v[141:142], v[54:55], -v[50:51]
	v_add_f64 v[14:15], v[14:15], v[6:7]
	v_mul_f64 v[126:127], v[8:9], s[4:5]
	v_fma_f64 v[86:87], v[153:154], v[139:140], v[10:11]
	s_waitcnt vmcnt(1) lgkmcnt(0)
	v_mul_f64 v[139:140], v[135:136], v[145:146]
	v_mul_f64 v[145:146], v[0:1], v[145:146]
	v_add_f64 v[153:154], v[118:119], v[56:57]
	v_fma_f64 v[10:11], v[110:111], s[4:5], v[114:115]
	v_mul_f64 v[102:103], v[4:5], -0.5
	v_fma_f64 v[155:156], v[141:142], s[4:5], v[106:107]
	s_waitcnt vmcnt(0)
	v_mul_f64 v[110:111], v[137:138], v[149:150]
	v_mul_f64 v[114:115], v[2:3], v[149:150]
	v_add_f64 v[149:150], v[38:39], v[60:61]
	v_fma_f64 v[126:127], v[12:13], 0.5, v[126:127]
	v_mul_f64 v[12:13], v[12:13], s[6:7]
	v_fma_f64 v[118:119], v[0:1], v[143:144], -v[139:140]
	v_fma_f64 v[94:95], v[135:136], v[143:144], v[145:146]
	v_fma_f64 v[139:140], v[141:142], s[6:7], v[106:107]
	v_add_f64 v[143:144], v[153:154], v[151:152]
	v_fma_f64 v[141:142], v[10:11], s[4:5], v[102:103]
	ds_read_b64 v[102:103], v199
	v_fma_f64 v[0:1], v[2:3], v[147:148], -v[110:111]
	v_lshlrev_b32_e32 v2, 3, v96
	v_cndmask_b32_e64 v3, 0, 0x10e0, s0
	v_fma_f64 v[96:97], v[137:138], v[147:148], v[114:115]
	v_add_f64 v[137:138], v[153:154], -v[151:152]
	v_fma_f64 v[149:150], v[149:150], -0.5, v[58:59]
	v_add_f64 v[151:152], v[38:39], -v[60:61]
	v_add3_u32 v135, 0, v3, v2
	ds_read_b64 v[2:3], v182
	ds_read_b64 v[114:115], v185
	;; [unrolled: 1-line block ×4, first 2 shown]
	s_waitcnt lgkmcnt(0)
	s_barrier
	buffer_gl0_inv
	v_add_f64 v[145:146], v[155:156], v[126:127]
	v_add_nc_u32_e32 v136, 0x400, v135
	v_add_f64 v[38:39], v[58:59], v[38:39]
	v_mul_f64 v[10:11], v[10:11], -0.5
	v_fma_f64 v[8:9], v[8:9], 0.5, v[12:13]
	v_add_f64 v[147:148], v[139:140], v[141:142]
	v_add_f64 v[139:140], v[139:140], -v[141:142]
	v_add_f64 v[141:142], v[100:101], v[104:105]
	v_add_f64 v[54:55], v[2:3], v[54:55]
	v_fma_f64 v[2:3], v[16:17], -0.5, v[2:3]
	v_add_f64 v[16:17], v[52:53], -v[56:57]
	ds_write2_b64 v135, v[143:144], v[145:146] offset1:90
	v_add_f64 v[143:144], v[104:105], v[124:125]
	v_add_f64 v[145:146], v[104:105], -v[124:125]
	v_add_f64 v[38:39], v[38:39], v[60:61]
	v_fma_f64 v[10:11], v[4:5], s[6:7], v[10:11]
	ds_write2_b64 v136, v[147:148], v[137:138] offset0:52 offset1:142
	v_add_f64 v[147:148], v[155:156], -v[126:127]
	v_add_f64 v[137:138], v[44:45], v[40:41]
	v_add_f64 v[124:125], v[141:142], v[124:125]
	v_fma_f64 v[12:13], v[16:17], s[6:7], v[2:3]
	v_fma_f64 v[16:17], v[16:17], s[4:5], v[2:3]
	v_fma_f64 v[143:144], v[143:144], -0.5, v[100:101]
	v_fma_f64 v[126:127], v[145:146], s[6:7], v[149:150]
	v_fma_f64 v[153:154], v[137:138], -0.5, v[116:117]
	v_add_f64 v[116:117], v[116:117], v[44:45]
	v_add_f64 v[159:160], v[12:13], v[8:9]
	v_add_f64 v[161:162], v[12:13], -v[8:9]
	v_add_f64 v[163:164], v[16:17], v[10:11]
	v_add_f64 v[165:166], v[16:17], -v[10:11]
	v_fma_f64 v[104:105], v[151:152], s[4:5], v[143:144]
	v_mul_f64 v[137:138], v[126:127], s[4:5]
	v_fma_f64 v[100:101], v[151:152], s[6:7], v[143:144]
	v_add_f64 v[143:144], v[46:47], -v[42:43]
	v_add_f64 v[141:142], v[116:117], v[40:41]
	v_fma_f64 v[116:117], v[145:146], s[4:5], v[149:150]
	v_add_f64 v[149:150], v[34:35], v[32:33]
	v_add_f64 v[40:41], v[44:45], -v[40:41]
	v_mul_f64 v[44:45], v[104:105], s[6:7]
	v_fma_f64 v[151:152], v[104:105], 0.5, v[137:138]
	v_mul_f64 v[145:146], v[100:101], -0.5
	v_fma_f64 v[155:156], v[143:144], s[4:5], v[153:154]
	v_add_nc_u32_e32 v137, 0x800, v135
	v_fma_f64 v[143:144], v[143:144], s[6:7], v[153:154]
	v_mov_b32_e32 v138, 0x10e0
	v_add_f64 v[153:154], v[34:35], -v[32:33]
	v_add_f64 v[34:35], v[36:37], v[34:35]
	ds_write2_b64 v137, v[147:148], v[139:140] offset0:104 offset1:194
	v_add_f64 v[139:140], v[141:142], v[124:125]
	v_mul_u32_u24_sdwa v129, v129, v138 dst_sel:DWORD dst_unused:UNUSED_PAD src0_sel:WORD_0 src1_sel:DWORD
	v_add_f64 v[124:125], v[141:142], -v[124:125]
	v_fma_f64 v[149:150], v[149:150], -0.5, v[36:37]
	v_mul_f64 v[60:61], v[116:117], -0.5
	v_add3_u32 v138, 0, v129, v128
	v_fma_f64 v[44:45], v[126:127], 0.5, v[44:45]
	v_fma_f64 v[145:146], v[116:117], s[4:5], v[145:146]
	v_add_f64 v[147:148], v[155:156], v[151:152]
	v_add_f64 v[151:152], v[155:156], -v[151:152]
	v_add_f64 v[155:156], v[66:67], v[20:21]
	v_add_f64 v[32:33], v[34:35], v[32:33]
	;; [unrolled: 1-line block ×3, first 2 shown]
	ds_write2_b64 v138, v[139:140], v[147:148] offset1:90
	v_add_f64 v[140:141], v[98:99], v[28:29]
	v_add_f64 v[147:148], v[98:99], -v[28:29]
	v_add_nc_u32_e32 v139, 0x400, v138
	v_add_f64 v[142:143], v[143:144], -v[145:146]
	v_fma_f64 v[155:156], v[155:156], -0.5, v[112:113]
	ds_write2_b64 v139, v[128:129], v[124:125] offset0:52 offset1:142
	v_fma_f64 v[144:145], v[140:141], -0.5, v[82:83]
	v_fma_f64 v[124:125], v[147:148], s[6:7], v[149:150]
	v_add_nc_u32_e32 v140, 0x800, v138
	v_add_f64 v[82:83], v[82:83], v[98:99]
	ds_write2_b64 v140, v[151:152], v[142:143] offset0:104 offset1:194
	v_add_f64 v[141:142], v[112:113], v[66:67]
	v_fma_f64 v[112:113], v[147:148], s[4:5], v[149:150]
	v_add_f64 v[66:67], v[66:67], -v[20:21]
	v_fma_f64 v[128:129], v[153:154], s[4:5], v[144:145]
	v_mul_f64 v[151:152], v[124:125], s[4:5]
	v_fma_f64 v[98:99], v[153:154], s[6:7], v[144:145]
	v_add_f64 v[143:144], v[68:69], -v[62:63]
	v_add_f64 v[28:29], v[82:83], v[28:29]
	v_add_f64 v[153:154], v[90:91], v[94:95]
	;; [unrolled: 1-line block ×3, first 2 shown]
	v_mul_f64 v[36:37], v[128:129], s[6:7]
	v_fma_f64 v[141:142], v[128:129], 0.5, v[151:152]
	v_mul_f64 v[145:146], v[98:99], -0.5
	v_fma_f64 v[147:148], v[143:144], s[4:5], v[155:156]
	v_fma_f64 v[143:144], v[143:144], s[6:7], v[155:156]
	v_fma_f64 v[153:154], v[153:154], -0.5, v[22:23]
	v_add_f64 v[149:150], v[82:83], v[28:29]
	v_add_f64 v[28:29], v[82:83], -v[28:29]
	v_fma_f64 v[36:37], v[124:125], 0.5, v[36:37]
	v_fma_f64 v[145:146], v[112:113], s[4:5], v[145:146]
	v_add_f64 v[151:152], v[147:148], v[141:142]
	v_add_f64 v[147:148], v[147:148], -v[141:142]
	v_add_nc_u32_e32 v141, 0x800, v133
	v_add_f64 v[82:83], v[143:144], v[145:146]
	ds_write2_b64 v133, v[149:150], v[151:152] offset1:90
	v_add_f64 v[149:150], v[30:31], v[118:119]
	v_add_f64 v[151:152], v[30:31], -v[118:119]
	v_add_f64 v[142:143], v[143:144], -v[145:146]
	;; [unrolled: 1-line block ×3, first 2 shown]
	ds_write2_b64 v134, v[82:83], v[28:29] offset0:52 offset1:142
	v_add_f64 v[28:29], v[64:65], v[74:75]
	v_fma_f64 v[82:83], v[149:150], -0.5, v[24:25]
	v_fma_f64 v[149:150], v[151:152], s[6:7], v[153:154]
	ds_write2_b64 v141, v[147:148], v[142:143] offset0:104 offset1:194
	v_add_f64 v[24:25], v[24:25], v[30:31]
	v_add_f64 v[30:31], v[108:109], v[64:65]
	v_add_f64 v[146:147], v[72:73], -v[70:71]
	v_add3_u32 v148, 0, v131, v132
	v_add_f64 v[64:65], v[64:65], -v[74:75]
	v_add_nc_u32_e32 v167, 0x800, v148
	v_fma_f64 v[28:29], v[28:29], -0.5, v[108:109]
	v_fma_f64 v[108:109], v[144:145], s[4:5], v[82:83]
	v_mul_f64 v[142:143], v[149:150], s[4:5]
	v_add_f64 v[24:25], v[24:25], v[118:119]
	v_fma_f64 v[118:119], v[144:145], s[6:7], v[82:83]
	v_add_f64 v[30:31], v[30:31], v[74:75]
	v_fma_f64 v[144:145], v[151:152], s[4:5], v[153:154]
	v_add_f64 v[74:75], v[22:23], v[90:91]
	v_mul_f64 v[90:91], v[108:109], s[6:7]
	v_fma_f64 v[82:83], v[108:109], 0.5, v[142:143]
	v_fma_f64 v[142:143], v[146:147], s[4:5], v[28:29]
	v_fma_f64 v[28:29], v[146:147], s[6:7], v[28:29]
	v_mul_f64 v[151:152], v[118:119], -0.5
	v_add_f64 v[153:154], v[30:31], v[24:25]
	v_add_f64 v[24:25], v[30:31], -v[24:25]
	v_mul_f64 v[108:109], v[144:145], -0.5
	v_add_f64 v[146:147], v[142:143], v[82:83]
	v_add_f64 v[82:83], v[142:143], -v[82:83]
	v_fma_f64 v[131:132], v[144:145], s[4:5], v[151:152]
	v_add_f64 v[151:152], v[78:79], v[92:93]
	v_add_f64 v[142:143], v[88:89], -v[96:97]
	ds_write2_b64 v148, v[153:154], v[146:147] offset1:90
	v_add_f64 v[146:147], v[26:27], v[0:1]
	v_add_f64 v[30:31], v[28:29], v[131:132]
	v_add_f64 v[28:29], v[28:29], -v[131:132]
	v_add_f64 v[131:132], v[18:19], v[26:27]
	v_fma_f64 v[18:19], v[146:147], -0.5, v[18:19]
	v_fma_f64 v[146:147], v[151:152], -0.5, v[84:85]
	v_add_f64 v[151:152], v[80:81], -v[86:87]
	v_add_f64 v[131:132], v[131:132], v[0:1]
	v_add_f64 v[0:1], v[26:27], -v[0:1]
	v_fma_f64 v[153:154], v[142:143], s[4:5], v[18:19]
	v_fma_f64 v[142:143], v[142:143], s[6:7], v[18:19]
	;; [unrolled: 1-line block ×4, first 2 shown]
	v_add_f64 v[146:147], v[88:89], v[96:97]
	v_fma_f64 v[146:147], v[146:147], -0.5, v[76:77]
	v_add_f64 v[76:77], v[76:77], v[88:89]
	v_mul_f64 v[88:89], v[153:154], s[6:7]
	v_fma_f64 v[151:152], v[0:1], s[6:7], v[146:147]
	v_fma_f64 v[146:147], v[0:1], s[4:5], v[146:147]
	v_add_f64 v[0:1], v[84:85], v[78:79]
	v_add_f64 v[78:79], v[78:79], -v[92:93]
	v_add_f64 v[76:77], v[76:77], v[96:97]
	v_fma_f64 v[88:89], v[151:152], 0.5, v[88:89]
	v_add_f64 v[0:1], v[0:1], v[92:93]
	v_mul_f64 v[92:93], v[146:147], -0.5
	v_add_f64 v[84:85], v[0:1], v[131:132]
	v_add_f64 v[0:1], v[0:1], -v[131:132]
	v_mul_f64 v[131:132], v[151:152], s[4:5]
	v_fma_f64 v[92:93], v[142:143], s[6:7], v[92:93]
	v_fma_f64 v[131:132], v[153:154], 0.5, v[131:132]
	v_add_f64 v[155:156], v[18:19], v[131:132]
	v_add_f64 v[18:19], v[18:19], -v[131:132]
	v_mul_f64 v[131:132], v[142:143], -0.5
	v_fma_f64 v[131:132], v[146:147], s[4:5], v[131:132]
	v_add_f64 v[157:158], v[26:27], v[131:132]
	v_add_f64 v[26:27], v[26:27], -v[131:132]
	v_add_nc_u32_e32 v132, 0x400, v148
	ds_write2_b64 v132, v[30:31], v[24:25] offset0:52 offset1:142
	ds_write2_b64 v167, v[82:83], v[28:29] offset0:104 offset1:194
	ds_write2_b64 v48, v[84:85], v[155:156] offset1:90
	ds_write2_b64 v168, v[157:158], v[0:1] offset0:52 offset1:142
	v_add_f64 v[84:85], v[68:69], v[62:63]
	ds_write2_b64 v169, v[18:19], v[26:27] offset0:104 offset1:194
	v_add_f64 v[18:19], v[114:115], v[46:47]
	v_add_f64 v[46:47], v[46:47], v[42:43]
	v_add_f64 v[155:156], v[72:73], v[70:71]
	v_add_f64 v[68:69], v[110:111], v[68:69]
	v_add_f64 v[72:73], v[106:107], v[72:73]
	v_add_f64 v[28:29], v[54:55], v[50:51]
	s_waitcnt lgkmcnt(0)
	s_barrier
	buffer_gl0_inv
	ds_read_b64 v[52:53], v198
	ds_read_b64 v[82:83], v200
	;; [unrolled: 1-line block ×6, first 2 shown]
	ds_read2_b64 v[0:3], v183 offset0:56 offset1:164
	ds_read2_b64 v[24:27], v194 offset0:104 offset1:212
	;; [unrolled: 1-line block ×5, first 2 shown]
	v_fma_f64 v[84:85], v[84:85], -0.5, v[110:111]
	v_add_f64 v[42:43], v[18:19], v[42:43]
	v_fma_f64 v[46:47], v[46:47], -0.5, v[114:115]
	v_add_f64 v[114:115], v[80:81], v[86:87]
	v_fma_f64 v[104:105], v[155:156], -0.5, v[106:107]
	v_mul_f64 v[106:107], v[112:113], -0.5
	v_add_f64 v[80:81], v[102:103], v[80:81]
	v_add_f64 v[62:63], v[68:69], v[62:63]
	;; [unrolled: 1-line block ×5, first 2 shown]
	v_add_f64 v[157:158], v[28:29], -v[14:15]
	ds_read2_b64 v[28:31], v195 offset0:32 offset1:140
	ds_read2_b64 v[12:15], v189 offset0:64 offset1:172
	;; [unrolled: 1-line block ×3, first 2 shown]
	v_fma_f64 v[34:35], v[66:67], s[6:7], v[84:85]
	v_fma_f64 v[66:67], v[66:67], s[4:5], v[84:85]
	v_fma_f64 v[84:85], v[149:150], 0.5, v[90:91]
	v_fma_f64 v[110:111], v[40:41], s[6:7], v[46:47]
	v_fma_f64 v[102:103], v[114:115], -0.5, v[102:103]
	v_fma_f64 v[40:41], v[40:41], s[4:5], v[46:47]
	v_fma_f64 v[46:47], v[100:101], s[6:7], v[60:61]
	;; [unrolled: 1-line block ×6, first 2 shown]
	v_add_f64 v[80:81], v[80:81], v[86:87]
	v_add_f64 v[60:61], v[42:43], v[38:39]
	v_add_f64 v[96:97], v[42:43], -v[38:39]
	v_add_f64 v[104:105], v[62:63], v[32:33]
	v_add_f64 v[62:63], v[62:63], -v[32:33]
	;; [unrolled: 2-line block ×3, first 2 shown]
	v_add_f64 v[94:95], v[110:111], v[44:45]
	v_fma_f64 v[86:87], v[78:79], s[6:7], v[102:103]
	v_fma_f64 v[78:79], v[78:79], s[4:5], v[102:103]
	v_add_f64 v[98:99], v[40:41], v[46:47]
	v_add_f64 v[100:101], v[110:111], -v[44:45]
	v_add_f64 v[102:103], v[40:41], -v[46:47]
	ds_read2_b64 v[32:35], v188 offset0:72 offset1:180
	ds_read2_b64 v[36:39], v205 offset0:96 offset1:204
	;; [unrolled: 1-line block ×4, first 2 shown]
	v_add_f64 v[110:111], v[66:67], v[68:69]
	v_add_f64 v[66:67], v[66:67], -v[68:69]
	v_add_f64 v[68:69], v[70:71], v[72:73]
	v_add_f64 v[70:71], v[70:71], -v[72:73]
	;; [unrolled: 2-line block ×5, first 2 shown]
	s_waitcnt lgkmcnt(0)
	s_barrier
	buffer_gl0_inv
	v_add_f64 v[80:81], v[86:87], v[88:89]
	v_add_f64 v[86:87], v[86:87], -v[88:89]
	v_add_f64 v[88:89], v[78:79], v[92:93]
	v_add_f64 v[78:79], v[78:79], -v[92:93]
	ds_write2_b64 v135, v[130:131], v[159:160] offset1:90
	ds_write2_b64 v136, v[163:164], v[157:158] offset0:52 offset1:142
	ds_write2_b64 v137, v[161:162], v[165:166] offset0:104 offset1:194
	ds_write2_b64 v138, v[60:61], v[94:95] offset1:90
	ds_write2_b64 v139, v[98:99], v[96:97] offset0:52 offset1:142
	ds_write2_b64 v140, v[100:101], v[102:103] offset0:104 offset1:194
	;; [unrolled: 3-line block ×5, first 2 shown]
	s_waitcnt lgkmcnt(0)
	s_barrier
	buffer_gl0_inv
	s_and_saveexec_b32 s0, vcc_lo
	s_cbranch_execz .LBB0_15
; %bb.14:
	v_mul_i32_i24_e32 v48, 5, v178
	v_mul_u32_u24_e32 v62, 5, v174
	v_sub_nc_u32_e32 v202, 0, v191
	v_sub_nc_u32_e32 v203, 0, v192
	;; [unrolled: 1-line block ×3, first 2 shown]
	v_lshlrev_b64 v[60:61], 4, v[48:49]
	v_lshlrev_b32_e32 v48, 4, v62
	v_mul_lo_u32 v234, s9, v122
	v_mul_lo_u32 v235, s8, v123
	v_add_nc_u32_e32 v180, v180, v203
	v_lshlrev_b64 v[120:121], 4, v[120:121]
	v_add_co_u32 v60, vcc_lo, s12, v60
	v_add_co_ci_u32_e32 v61, vcc_lo, s13, v61, vcc_lo
	v_add_co_u32 v72, s0, s12, v48
	v_add_co_ci_u32_e64 v73, null, s13, 0, s0
	v_add_co_u32 v76, vcc_lo, 0x2190, v60
	v_add_co_ci_u32_e32 v77, vcc_lo, 0, v61, vcc_lo
	v_add_co_u32 v80, vcc_lo, 0x2190, v72
	v_add_co_ci_u32_e32 v81, vcc_lo, 0, v73, vcc_lo
	;; [unrolled: 2-line block ×3, first 2 shown]
	s_clause 0x2
	global_load_dwordx4 v[60:63], v[76:77], off offset:32
	global_load_dwordx4 v[64:67], v[76:77], off offset:16
	;; [unrolled: 1-line block ×3, first 2 shown]
	v_mul_i32_i24_e32 v48, 5, v177
	v_add_co_u32 v92, vcc_lo, 0x2000, v72
	v_add_co_ci_u32_e32 v93, vcc_lo, 0, v73, vcc_lo
	v_lshlrev_b64 v[94:95], 4, v[48:49]
	v_mul_i32_i24_e32 v48, 5, v176
	s_clause 0x3
	global_load_dwordx4 v[72:75], v[84:85], off offset:400
	global_load_dwordx4 v[76:79], v[76:77], off offset:48
	;; [unrolled: 1-line block ×4, first 2 shown]
	v_add_nc_u32_e32 v246, 0x6c, v174
	v_add_co_u32 v104, vcc_lo, s12, v94
	v_add_co_ci_u32_e32 v105, vcc_lo, s13, v95, vcc_lo
	s_clause 0x2
	global_load_dwordx4 v[92:95], v[92:93], off offset:400
	global_load_dwordx4 v[96:99], v[80:81], off offset:48
	;; [unrolled: 1-line block ×3, first 2 shown]
	v_add_co_u32 v80, vcc_lo, 0x2190, v104
	v_lshlrev_b64 v[108:109], 4, v[48:49]
	v_add_co_ci_u32_e32 v81, vcc_lo, 0, v105, vcc_lo
	v_add_co_u32 v124, vcc_lo, 0x2000, v104
	v_add_co_ci_u32_e32 v125, vcc_lo, 0, v105, vcc_lo
	v_add_co_u32 v116, vcc_lo, s12, v108
	v_mul_i32_i24_e32 v48, 5, v175
	v_add_co_ci_u32_e32 v117, vcc_lo, s13, v109, vcc_lo
	s_clause 0x2
	global_load_dwordx4 v[104:107], v[80:81], off offset:48
	global_load_dwordx4 v[108:111], v[80:81], off offset:32
	;; [unrolled: 1-line block ×3, first 2 shown]
	v_add_co_u32 v80, vcc_lo, 0x2000, v116
	v_lshlrev_b64 v[48:49], 4, v[48:49]
	v_add_co_ci_u32_e32 v81, vcc_lo, 0, v117, vcc_lo
	v_add_co_u32 v140, vcc_lo, 0x2190, v116
	v_add_co_ci_u32_e32 v141, vcc_lo, 0, v117, vcc_lo
	v_add_co_u32 v152, vcc_lo, s12, v48
	v_add_co_ci_u32_e32 v153, vcc_lo, s13, v49, vcc_lo
	global_load_dwordx4 v[116:119], v[124:125], off offset:464
	v_add_co_u32 v48, vcc_lo, 0x2190, v152
	v_add_co_ci_u32_e32 v49, vcc_lo, 0, v153, vcc_lo
	s_clause 0x6
	global_load_dwordx4 v[124:127], v[124:125], off offset:400
	global_load_dwordx4 v[128:131], v[80:81], off offset:400
	global_load_dwordx4 v[132:135], v[140:141], off offset:48
	global_load_dwordx4 v[136:139], v[140:141], off offset:16
	global_load_dwordx4 v[140:143], v[140:141], off offset:32
	global_load_dwordx4 v[144:147], v[80:81], off offset:464
	global_load_dwordx4 v[148:151], v[48:49], off offset:16
	v_add_co_u32 v80, vcc_lo, 0x2000, v152
	v_add_co_ci_u32_e32 v81, vcc_lo, 0, v153, vcc_lo
	s_clause 0x3
	global_load_dwordx4 v[152:155], v[48:49], off offset:48
	global_load_dwordx4 v[156:159], v[48:49], off offset:32
	;; [unrolled: 1-line block ×4, first 2 shown]
	v_mul_hi_u32 v80, 0xf2b9d649, v174
	ds_read2_b64 v[168:171], v194 offset0:104 offset1:212
	ds_read2_b64 v[175:178], v195 offset0:32 offset1:140
	;; [unrolled: 1-line block ×12, first 2 shown]
	v_mad_u64_u32 v[48:49], null, s8, v122, 0
	v_mul_hi_u32 v247, 0xf2b9d649, v246
	v_lshrrev_b32_e32 v183, 9, v80
	ds_read_b64 v[80:81], v186
	ds_read_b64 v[122:123], v185
	;; [unrolled: 1-line block ×3, first 2 shown]
	v_add_nc_u32_e32 v185, v181, v233
	v_add3_u32 v49, v49, v235, v234
	v_mul_u32_u24_e32 v182, 0x21c, v183
	v_add_nc_u32_e32 v183, v179, v202
	v_lshlrev_b64 v[48:49], 4, v[48:49]
	v_sub_nc_u32_e32 v248, v174, v182
	ds_read_b64 v[179:180], v180
	ds_read_b64 v[181:182], v183
	;; [unrolled: 1-line block ×3, first 2 shown]
	v_add_co_u32 v48, vcc_lo, s10, v48
	v_mad_u64_u32 v[183:184], null, s2, v248, 0
	v_add_nc_u32_e32 v197, 0x21c, v248
	v_add_nc_u32_e32 v204, 0x438, v248
	v_add_co_ci_u32_e32 v49, vcc_lo, s11, v49, vcc_lo
	v_add_co_u32 v48, vcc_lo, v48, v120
	v_mad_u64_u32 v[195:196], null, s2, v197, 0
	v_mad_u64_u32 v[202:203], null, s2, v204, 0
	v_add_co_ci_u32_e32 v49, vcc_lo, v49, v121, vcc_lo
	v_add_nc_u32_e32 v249, 0x654, v248
	s_waitcnt lgkmcnt(0)
	v_mad_u64_u32 v[233:234], null, s3, v248, v[184:185]
	v_mov_b32_e32 v184, v196
	v_mov_b32_e32 v196, v203
	v_mad_u64_u32 v[236:237], null, s2, v249, 0
	v_mad_u64_u32 v[120:121], null, s3, v197, v[184:185]
	;; [unrolled: 1-line block ×3, first 2 shown]
	v_mov_b32_e32 v184, v233
	v_mov_b32_e32 v196, v120
	v_lshlrev_b64 v[183:184], 4, v[183:184]
	v_lshlrev_b64 v[195:196], 4, v[195:196]
	v_add_co_u32 v183, vcc_lo, v48, v183
	v_add_co_ci_u32_e32 v184, vcc_lo, v49, v184, vcc_lo
	s_waitcnt vmcnt(23)
	v_mul_f64 v[238:239], v[66:67], v[168:169]
	s_waitcnt vmcnt(22)
	v_mul_f64 v[234:235], v[70:71], v[170:171]
	v_mul_f64 v[170:171], v[68:69], v[170:171]
	;; [unrolled: 1-line block ×3, first 2 shown]
	s_waitcnt vmcnt(20)
	v_mul_f64 v[240:241], v[78:79], v[175:176]
	v_mul_f64 v[175:176], v[76:77], v[175:176]
	s_waitcnt vmcnt(18)
	v_mul_f64 v[120:121], v[90:91], v[177:178]
	v_mul_f64 v[177:178], v[88:89], v[177:178]
	s_waitcnt vmcnt(16)
	v_mul_f64 v[244:245], v[98:99], v[229:230]
	s_waitcnt vmcnt(15)
	v_mul_f64 v[242:243], v[102:103], v[225:226]
	v_mul_f64 v[225:226], v[100:101], v[225:226]
	;; [unrolled: 1-line block ×3, first 2 shown]
	v_fma_f64 v[64:65], v[24:25], v[64:65], -v[238:239]
	v_fma_f64 v[68:69], v[26:27], v[68:69], -v[234:235]
	v_fma_f64 v[26:27], v[26:27], v[70:71], v[170:171]
	v_mul_f64 v[70:71], v[94:95], v[185:186]
	v_mul_f64 v[170:171], v[92:93], v[185:186]
	;; [unrolled: 1-line block ×3, first 2 shown]
	v_fma_f64 v[24:25], v[24:25], v[66:67], v[168:169]
	v_mul_f64 v[66:67], v[62:63], v[200:201]
	v_mul_f64 v[168:169], v[86:87], v[207:208]
	;; [unrolled: 1-line block ×4, first 2 shown]
	v_fma_f64 v[88:89], v[30:31], v[88:89], -v[120:121]
	v_fma_f64 v[30:31], v[30:31], v[90:91], v[177:178]
	v_mul_f64 v[90:91], v[72:73], v[193:194]
	s_waitcnt vmcnt(12)
	v_mul_f64 v[120:121], v[114:115], v[211:212]
	v_fma_f64 v[76:77], v[28:29], v[76:77], -v[240:241]
	v_fma_f64 v[28:29], v[28:29], v[78:79], v[175:176]
	v_mul_f64 v[78:79], v[106:107], v[215:216]
	v_mul_f64 v[175:176], v[112:113], v[211:212]
	;; [unrolled: 1-line block ×5, first 2 shown]
	v_fma_f64 v[100:101], v[0:1], v[100:101], -v[242:243]
	v_fma_f64 v[0:1], v[0:1], v[102:103], v[225:226]
	v_fma_f64 v[96:97], v[4:5], v[96:97], -v[244:245]
	s_waitcnt vmcnt(11)
	v_mul_f64 v[211:212], v[118:119], v[205:206]
	v_mul_f64 v[204:205], v[116:117], v[205:206]
	s_waitcnt vmcnt(10)
	v_mul_f64 v[215:216], v[126:127], v[191:192]
	v_mul_f64 v[191:192], v[124:125], v[191:192]
	v_fma_f64 v[70:71], v[82:83], v[92:93], -v[70:71]
	v_fma_f64 v[82:83], v[82:83], v[94:95], v[170:171]
	s_waitcnt vmcnt(6)
	v_mul_f64 v[94:95], v[142:143], v[223:224]
	s_waitcnt vmcnt(5)
	v_mul_f64 v[170:171], v[146:147], v[189:190]
	v_mul_f64 v[102:103], v[140:141], v[223:224]
	;; [unrolled: 1-line block ×6, first 2 shown]
	v_fma_f64 v[4:5], v[4:5], v[98:99], v[229:230]
	v_mul_f64 v[98:99], v[128:129], v[219:220]
	s_waitcnt vmcnt(4)
	v_mul_f64 v[219:220], v[150:151], v[227:228]
	v_mul_f64 v[223:224], v[148:149], v[227:228]
	s_waitcnt vmcnt(3)
	v_mul_f64 v[225:226], v[154:155], v[231:232]
	;; [unrolled: 3-line block ×4, first 2 shown]
	v_mul_f64 v[187:188], v[160:161], v[187:188]
	v_mul_f64 v[209:210], v[136:137], v[209:210]
	v_mul_f64 v[213:214], v[132:133], v[213:214]
	s_waitcnt vmcnt(0)
	v_mul_f64 v[240:241], v[166:167], v[217:218]
	v_mul_f64 v[217:218], v[164:165], v[217:218]
	v_fma_f64 v[72:73], v[38:39], v[72:73], -v[185:186]
	v_fma_f64 v[60:61], v[42:43], v[60:61], -v[66:67]
	;; [unrolled: 1-line block ×3, first 2 shown]
	v_fma_f64 v[42:43], v[42:43], v[62:63], v[200:201]
	v_fma_f64 v[46:47], v[46:47], v[86:87], v[207:208]
	;; [unrolled: 1-line block ×3, first 2 shown]
	v_fma_f64 v[62:63], v[22:23], v[112:113], -v[120:121]
	v_fma_f64 v[74:75], v[34:35], v[104:105], -v[78:79]
	v_fma_f64 v[22:23], v[22:23], v[114:115], v[175:176]
	v_fma_f64 v[34:35], v[34:35], v[106:107], v[177:178]
	v_fma_f64 v[78:79], v[36:37], v[124:125], -v[215:216]
	v_fma_f64 v[84:85], v[40:41], v[108:109], -v[193:194]
	;; [unrolled: 1-line block ×3, first 2 shown]
	v_fma_f64 v[40:41], v[40:41], v[110:111], v[197:198]
	v_fma_f64 v[44:45], v[44:45], v[118:119], v[204:205]
	;; [unrolled: 1-line block ×3, first 2 shown]
	v_fma_f64 v[94:95], v[14:15], v[140:141], -v[94:95]
	v_fma_f64 v[106:107], v[18:19], v[144:145], -v[170:171]
	v_fma_f64 v[14:15], v[14:15], v[142:143], v[102:103]
	v_fma_f64 v[18:19], v[18:19], v[146:147], v[189:190]
	v_fma_f64 v[90:91], v[20:21], v[136:137], -v[233:234]
	v_fma_f64 v[104:105], v[32:33], v[132:133], -v[238:239]
	;; [unrolled: 1-line block ×3, first 2 shown]
	v_fma_f64 v[10:11], v[10:11], v[130:131], v[98:99]
	v_fma_f64 v[110:111], v[12:13], v[156:157], -v[229:230]
	v_fma_f64 v[112:113], v[16:17], v[160:161], -v[231:232]
	v_fma_f64 v[12:13], v[12:13], v[158:159], v[221:222]
	v_fma_f64 v[16:17], v[16:17], v[162:163], v[187:188]
	;; [unrolled: 1-line block ×4, first 2 shown]
	v_fma_f64 v[98:99], v[2:3], v[148:149], -v[219:220]
	v_fma_f64 v[102:103], v[6:7], v[152:153], -v[225:226]
	v_fma_f64 v[2:3], v[2:3], v[150:151], v[223:224]
	v_fma_f64 v[6:7], v[6:7], v[154:155], v[227:228]
	v_fma_f64 v[108:109], v[8:9], v[164:165], -v[240:241]
	v_fma_f64 v[8:9], v[8:9], v[166:167], v[217:218]
	v_add_f64 v[114:115], v[100:101], -v[96:97]
	v_add_f64 v[118:119], v[68:69], v[88:89]
	v_add_f64 v[120:121], v[26:27], -v[30:31]
	v_add_f64 v[124:125], v[68:69], -v[88:89]
	v_add_f64 v[126:127], v[26:27], v[30:31]
	v_add_f64 v[128:129], v[0:1], v[172:173]
	;; [unrolled: 1-line block ×6, first 2 shown]
	v_add_f64 v[132:133], v[64:65], -v[76:77]
	v_add_f64 v[136:137], v[60:61], v[66:67]
	v_add_f64 v[138:139], v[42:43], -v[46:47]
	v_add_f64 v[142:143], v[42:43], v[46:47]
	v_add_f64 v[144:145], v[24:25], v[179:180]
	;; [unrolled: 1-line block ×5, first 2 shown]
	v_add_f64 v[148:149], v[62:63], -v[74:75]
	v_add_f64 v[152:153], v[84:85], v[86:87]
	v_add_f64 v[154:155], v[40:41], -v[44:45]
	v_add_f64 v[156:157], v[84:85], -v[86:87]
	v_add_f64 v[158:159], v[40:41], v[44:45]
	v_add_f64 v[160:161], v[22:23], v[181:182]
	;; [unrolled: 1-line block ×8, first 2 shown]
	v_add_f64 v[140:141], v[60:61], -v[66:67]
	v_add_f64 v[60:61], v[72:73], v[60:61]
	v_add_f64 v[150:151], v[22:23], v[34:35]
	v_add_f64 v[170:171], v[14:15], -v[18:19]
	v_add_f64 v[14:15], v[10:11], v[14:15]
	v_add_f64 v[187:188], v[90:91], v[104:105]
	;; [unrolled: 1-line block ×4, first 2 shown]
	v_add_f64 v[0:1], v[0:1], -v[4:5]
	v_add_f64 v[134:135], v[24:25], v[28:29]
	v_add_f64 v[24:25], v[24:25], -v[28:29]
	v_add_f64 v[22:23], v[22:23], -v[34:35]
	;; [unrolled: 1-line block ×3, first 2 shown]
	v_add_f64 v[166:167], v[20:21], v[32:33]
	v_add_f64 v[175:176], v[94:95], -v[106:107]
	v_add_f64 v[185:186], v[20:21], v[80:81]
	v_add_f64 v[90:91], v[56:57], v[90:91]
	;; [unrolled: 1-line block ×5, first 2 shown]
	v_add_f64 v[197:198], v[12:13], -v[16:17]
	v_add_f64 v[206:207], v[2:3], v[122:123]
	v_add_f64 v[12:13], v[8:9], v[12:13]
	;; [unrolled: 1-line block ×3, first 2 shown]
	v_add_f64 v[210:211], v[2:3], -v[6:7]
	v_add_f64 v[2:3], v[50:51], v[98:99]
	v_fma_f64 v[70:71], v[118:119], -0.5, v[70:71]
	v_fma_f64 v[82:83], v[126:127], -0.5, v[82:83]
	v_add_f64 v[4:5], v[4:5], v[128:129]
	v_add_f64 v[26:27], v[26:27], v[30:31]
	v_fma_f64 v[30:31], v[130:131], -0.5, v[58:59]
	v_add_f64 v[58:59], v[100:101], v[96:97]
	v_add_f64 v[68:69], v[68:69], v[88:89]
	v_fma_f64 v[72:73], v[136:137], -0.5, v[72:73]
	v_fma_f64 v[96:97], v[142:143], -0.5, v[38:39]
	v_add_f64 v[28:29], v[28:29], v[144:145]
	v_add_f64 v[46:47], v[42:43], v[46:47]
	v_fma_f64 v[54:55], v[146:147], -0.5, v[54:55]
	v_add_f64 v[64:65], v[64:65], v[76:77]
	v_fma_f64 v[76:77], v[152:153], -0.5, v[78:79]
	v_fma_f64 v[78:79], v[158:159], -0.5, v[36:37]
	v_add_f64 v[34:35], v[34:35], v[160:161]
	v_add_f64 v[44:45], v[40:41], v[44:45]
	;; [unrolled: 1-line block ×4, first 2 shown]
	v_fma_f64 v[84:85], v[168:169], -0.5, v[92:93]
	v_fma_f64 v[10:11], v[177:178], -0.5, v[10:11]
	v_add_f64 v[60:61], v[60:61], v[66:67]
	v_fma_f64 v[66:67], v[150:151], -0.5, v[181:182]
	v_fma_f64 v[52:53], v[162:163], -0.5, v[52:53]
	v_add_f64 v[20:21], v[20:21], -v[32:33]
	v_add_f64 v[200:201], v[110:111], -v[112:113]
	v_add_f64 v[14:15], v[14:15], v[18:19]
	v_fma_f64 v[18:19], v[187:188], -0.5, v[56:57]
	v_fma_f64 v[8:9], v[204:205], -0.5, v[8:9]
	v_add_f64 v[189:190], v[98:99], -v[102:103]
	v_add_f64 v[98:99], v[108:109], v[110:111]
	v_fma_f64 v[110:111], v[116:117], -0.5, v[172:173]
	v_fma_f64 v[88:89], v[134:135], -0.5, v[179:180]
	;; [unrolled: 1-line block ×3, first 2 shown]
	v_add_f64 v[32:33], v[32:33], v[185:186]
	v_add_f64 v[86:87], v[90:91], v[104:105]
	;; [unrolled: 1-line block ×3, first 2 shown]
	v_fma_f64 v[94:95], v[193:194], -0.5, v[108:109]
	v_add_f64 v[100:101], v[6:7], v[206:207]
	v_add_f64 v[12:13], v[12:13], v[16:17]
	v_fma_f64 v[16:17], v[208:209], -0.5, v[50:51]
	v_add_f64 v[102:103], v[2:3], v[102:103]
	v_fma_f64 v[106:107], v[120:121], s[6:7], v[70:71]
	v_fma_f64 v[108:109], v[124:125], s[4:5], v[82:83]
	;; [unrolled: 1-line block ×4, first 2 shown]
	v_add_f64 v[38:39], v[4:5], -v[26:27]
	v_add_f64 v[36:37], v[58:59], -v[68:69]
	v_add_f64 v[42:43], v[4:5], v[26:27]
	v_add_f64 v[40:41], v[58:59], v[68:69]
	v_fma_f64 v[68:69], v[138:139], s[6:7], v[72:73]
	v_fma_f64 v[116:117], v[140:141], s[4:5], v[96:97]
	v_fma_f64 v[72:73], v[138:139], s[4:5], v[72:73]
	v_add_f64 v[2:3], v[28:29], -v[46:47]
	v_fma_f64 v[118:119], v[24:25], s[6:7], v[54:55]
	v_fma_f64 v[120:121], v[24:25], s[4:5], v[54:55]
	v_add_f64 v[6:7], v[28:29], v[46:47]
	v_fma_f64 v[124:125], v[156:157], s[4:5], v[78:79]
	v_add_f64 v[26:27], v[34:35], -v[44:45]
	v_add_f64 v[24:25], v[62:63], -v[74:75]
	v_add_f64 v[46:47], v[34:35], v[44:45]
	v_add_f64 v[44:45], v[62:63], v[74:75]
	v_fma_f64 v[74:75], v[170:171], s[4:5], v[84:85]
	v_fma_f64 v[92:93], v[191:192], -0.5, v[122:123]
	v_fma_f64 v[28:29], v[154:155], s[6:7], v[76:77]
	v_fma_f64 v[76:77], v[154:155], s[4:5], v[76:77]
	v_fma_f64 v[34:35], v[175:176], s[4:5], v[10:11]
	v_fma_f64 v[96:97], v[140:141], s[6:7], v[96:97]
	v_fma_f64 v[122:123], v[148:149], s[4:5], v[66:67]
	v_fma_f64 v[126:127], v[148:149], s[6:7], v[66:67]
	v_fma_f64 v[66:67], v[156:157], s[6:7], v[78:79]
	v_fma_f64 v[128:129], v[22:23], s[6:7], v[52:53]
	v_fma_f64 v[130:131], v[22:23], s[4:5], v[52:53]
	v_fma_f64 v[22:23], v[170:171], s[6:7], v[84:85]
	v_fma_f64 v[10:11], v[175:176], s[6:7], v[10:11]
	v_fma_f64 v[136:137], v[20:21], s[6:7], v[18:19]
	v_fma_f64 v[138:139], v[20:21], s[4:5], v[18:19]
	v_fma_f64 v[18:19], v[200:201], s[4:5], v[8:9]
	v_add_f64 v[98:99], v[98:99], v[112:113]
	v_fma_f64 v[104:105], v[114:115], s[4:5], v[110:111]
	v_fma_f64 v[110:111], v[114:115], s[6:7], v[110:111]
	;; [unrolled: 1-line block ×6, first 2 shown]
	v_add_f64 v[52:53], v[32:33], -v[14:15]
	v_add_f64 v[50:51], v[86:87], -v[90:91]
	v_add_f64 v[56:57], v[32:33], v[14:15]
	v_add_f64 v[54:55], v[86:87], v[90:91]
	v_fma_f64 v[14:15], v[197:198], s[6:7], v[94:95]
	v_fma_f64 v[20:21], v[197:198], s[4:5], v[94:95]
	;; [unrolled: 1-line block ×3, first 2 shown]
	v_mul_f64 v[32:33], v[108:109], -0.5
	v_mul_f64 v[62:63], v[70:71], s[6:7]
	v_mul_f64 v[78:79], v[82:83], s[4:5]
	v_fma_f64 v[146:147], v[210:211], s[4:5], v[16:17]
	v_mul_f64 v[16:17], v[116:117], -0.5
	v_mul_f64 v[80:81], v[72:73], s[6:7]
	v_mul_f64 v[84:85], v[68:69], -0.5
	v_mul_f64 v[90:91], v[124:125], -0.5
	v_mul_f64 v[152:153], v[74:75], s[6:7]
	v_fma_f64 v[112:113], v[0:1], s[6:7], v[30:31]
	v_fma_f64 v[30:31], v[0:1], s[4:5], v[30:31]
	v_add_f64 v[0:1], v[64:65], -v[60:61]
	v_add_f64 v[4:5], v[64:65], v[60:61]
	v_fma_f64 v[140:141], v[189:190], s[4:5], v[92:93]
	v_fma_f64 v[142:143], v[189:190], s[6:7], v[92:93]
	v_mul_f64 v[64:65], v[106:107], -0.5
	v_mul_f64 v[92:93], v[76:77], s[6:7]
	v_mul_f64 v[150:151], v[34:35], -0.5
	v_mul_f64 v[94:95], v[28:29], -0.5
	v_fma_f64 v[8:9], v[200:201], s[6:7], v[8:9]
	v_mul_f64 v[86:87], v[96:97], s[4:5]
	v_mul_f64 v[148:149], v[66:67], s[4:5]
	v_mul_f64 v[154:155], v[22:23], -0.5
	v_mul_f64 v[156:157], v[10:11], s[4:5]
	v_mul_f64 v[158:159], v[18:19], -0.5
	v_add_f64 v[58:59], v[102:103], -v[98:99]
	v_mul_f64 v[160:161], v[20:21], s[6:7]
	v_mul_f64 v[162:163], v[14:15], -0.5
	v_fma_f64 v[32:33], v[106:107], s[6:7], v[32:33]
	v_fma_f64 v[82:83], v[82:83], 0.5, v[62:63]
	v_fma_f64 v[78:79], v[70:71], 0.5, v[78:79]
	v_add_f64 v[62:63], v[102:103], v[98:99]
	v_fma_f64 v[16:17], v[68:69], s[6:7], v[16:17]
	v_fma_f64 v[96:97], v[96:97], 0.5, v[80:81]
	v_fma_f64 v[84:85], v[116:117], s[4:5], v[84:85]
	v_fma_f64 v[90:91], v[28:29], s[6:7], v[90:91]
	v_fma_f64 v[102:103], v[10:11], 0.5, v[152:153]
	v_add_f64 v[60:61], v[100:101], -v[12:13]
	v_fma_f64 v[106:107], v[108:109], s[4:5], v[64:65]
	v_add_f64 v[64:65], v[100:101], v[12:13]
	v_fma_f64 v[92:93], v[66:67], 0.5, v[92:93]
	v_fma_f64 v[100:101], v[22:23], s[6:7], v[150:151]
	v_fma_f64 v[94:95], v[124:125], s[4:5], v[94:95]
	v_mul_f64 v[164:165], v[8:9], s[4:5]
	v_fma_f64 v[86:87], v[72:73], 0.5, v[86:87]
	v_fma_f64 v[98:99], v[76:77], 0.5, v[148:149]
	v_fma_f64 v[108:109], v[34:35], s[4:5], v[154:155]
	v_fma_f64 v[116:117], v[74:75], 0.5, v[156:157]
	v_fma_f64 v[124:125], v[14:15], s[6:7], v[158:159]
	v_mov_b32_e32 v199, v237
	v_fma_f64 v[148:149], v[8:9], 0.5, v[160:161]
	v_fma_f64 v[150:151], v[18:19], s[4:5], v[162:163]
	v_add_f64 v[68:69], v[104:105], -v[32:33]
	v_add_f64 v[70:71], v[30:31], -v[78:79]
	v_add_f64 v[76:77], v[104:105], v[32:33]
	v_add_f64 v[78:79], v[30:31], v[78:79]
	v_add_f64 v[10:11], v[114:115], -v[16:17]
	v_add_f64 v[14:15], v[88:89], -v[96:97]
	;; [unrolled: 1-line block ×3, first 2 shown]
	v_add_f64 v[18:19], v[114:115], v[16:17]
	v_add_f64 v[22:23], v[88:89], v[96:97]
	;; [unrolled: 1-line block ×3, first 2 shown]
	v_add_f64 v[30:31], v[122:123], -v[90:91]
	v_add_f64 v[84:85], v[122:123], v[90:91]
	v_add_f64 v[96:97], v[134:135], -v[102:103]
	v_add_f64 v[104:105], v[134:135], v[102:103]
	v_mad_u64_u32 v[122:123], null, s3, v249, v[199:200]
	v_add_nc_u32_e32 v134, 0x870, v248
	v_add_f64 v[34:35], v[126:127], -v[92:93]
	v_add_f64 v[88:89], v[126:127], v[92:93]
	v_add_f64 v[92:93], v[132:133], -v[100:101]
	v_add_f64 v[100:101], v[132:133], v[100:101]
	v_lshrrev_b32_e32 v133, 9, v247
	v_add_f64 v[72:73], v[110:111], -v[82:83]
	v_add_f64 v[80:81], v[110:111], v[82:83]
	v_add_f64 v[28:29], v[128:129], -v[94:95]
	v_add_f64 v[82:83], v[128:129], v[94:95]
	v_add_nc_u32_e32 v135, 0xa8c, v248
	v_mad_u64_u32 v[127:128], null, s2, v134, 0
	v_mov_b32_e32 v237, v122
	v_mul_u32_u24_e32 v122, 0x21c, v133
	v_add_f64 v[74:75], v[112:113], v[106:107]
	v_fma_f64 v[152:153], v[20:21], 0.5, v[164:165]
	v_add_f64 v[12:13], v[120:121], -v[86:87]
	v_add_f64 v[20:21], v[120:121], v[86:87]
	v_add_f64 v[32:33], v[130:131], -v[98:99]
	v_add_f64 v[86:87], v[130:131], v[98:99]
	v_mad_u64_u32 v[129:130], null, s2, v135, 0
	v_add_f64 v[90:91], v[136:137], -v[108:109]
	v_add_f64 v[98:99], v[136:137], v[108:109]
	v_add_co_u32 v123, vcc_lo, v48, v195
	v_sub_nc_u32_e32 v136, v246, v122
	v_mov_b32_e32 v122, v128
	v_add_f64 v[94:95], v[138:139], -v[116:117]
	v_add_f64 v[102:103], v[138:139], v[116:117]
	v_add_f64 v[108:109], v[140:141], -v[124:125]
	v_add_f64 v[116:117], v[140:141], v[124:125]
	v_lshlrev_b64 v[125:126], 4, v[202:203]
	v_mov_b32_e32 v128, v130
	v_mad_u32_u24 v137, 0xca8, v133, v136
	v_mad_u64_u32 v[133:134], null, s3, v134, v[122:123]
	v_lshlrev_b64 v[131:132], 4, v[236:237]
	v_add_co_ci_u32_e32 v124, vcc_lo, v49, v196, vcc_lo
	v_add_co_u32 v125, vcc_lo, v48, v125
	v_mad_u64_u32 v[134:135], null, s3, v135, v[128:129]
	v_add_co_ci_u32_e32 v126, vcc_lo, v49, v126, vcc_lo
	v_mad_u64_u32 v[135:136], null, s2, v137, 0
	v_add_co_u32 v130, vcc_lo, v48, v131
	v_mov_b32_e32 v128, v133
	v_add_co_ci_u32_e32 v131, vcc_lo, v49, v132, vcc_lo
	global_store_dwordx4 v[183:184], v[40:43], off
	global_store_dwordx4 v[123:124], v[78:81], off
	;; [unrolled: 1-line block ×4, first 2 shown]
	v_lshlrev_b64 v[37:38], 4, v[127:128]
	v_mov_b32_e32 v36, v136
	v_add_nc_u32_e32 v78, 0x21c, v137
	v_mov_b32_e32 v130, v134
	v_add_f64 v[66:67], v[112:113], -v[106:107]
	v_add_nc_u32_e32 v80, 0x438, v137
	v_mad_u64_u32 v[39:40], null, s3, v137, v[36:37]
	v_mad_u64_u32 v[42:43], null, s2, v78, 0
	v_lshlrev_b64 v[40:41], 4, v[129:130]
	v_add_co_u32 v36, vcc_lo, v48, v37
	v_mad_u64_u32 v[76:77], null, s2, v80, 0
	v_mov_b32_e32 v136, v39
	v_add_co_ci_u32_e32 v37, vcc_lo, v49, v38, vcc_lo
	v_add_co_u32 v38, vcc_lo, v48, v40
	v_mov_b32_e32 v40, v43
	v_add_nc_u32_e32 v123, 0xd8, v174
	v_lshlrev_b64 v[74:75], 4, v[135:136]
	v_add_co_ci_u32_e32 v39, vcc_lo, v49, v41, vcc_lo
	v_mad_u64_u32 v[40:41], null, s3, v78, v[40:41]
	v_add_nc_u32_e32 v122, 0x654, v137
	v_mov_b32_e32 v41, v77
	v_mul_hi_u32 v77, 0xf2b9d649, v123
	v_add_co_u32 v74, vcc_lo, v48, v74
	v_mad_u64_u32 v[78:79], null, s2, v122, 0
	v_add_co_ci_u32_e32 v75, vcc_lo, v49, v75, vcc_lo
	v_mov_b32_e32 v43, v40
	global_store_dwordx4 v[36:37], v[70:73], off
	global_store_dwordx4 v[38:39], v[66:69], off
	;; [unrolled: 1-line block ×3, first 2 shown]
	v_lshrrev_b32_e32 v62, 9, v77
	v_mad_u64_u32 v[80:81], null, s3, v80, v[41:42]
	v_mov_b32_e32 v38, v79
	v_lshlrev_b64 v[36:37], 4, v[42:43]
	v_add_nc_u32_e32 v43, 0x870, v137
	v_mul_u32_u24_e32 v41, 0x21c, v62
	v_add_nc_u32_e32 v70, 0xa8c, v137
	v_mad_u64_u32 v[38:39], null, s3, v122, v[38:39]
	v_mad_u64_u32 v[39:40], null, s2, v43, 0
	v_sub_nc_u32_e32 v63, v123, v41
	v_add_f64 v[120:121], v[142:143], v[148:149]
	v_add_f64 v[118:119], v[146:147], v[152:153]
	;; [unrolled: 1-line block ×3, first 2 shown]
	v_mov_b32_e32 v77, v80
	v_mad_u32_u24 v72, 0xca8, v62, v63
	v_mad_u64_u32 v[62:63], null, s2, v70, 0
	v_mov_b32_e32 v79, v38
	v_mov_b32_e32 v38, v40
	v_mad_u64_u32 v[64:65], null, s2, v72, 0
	v_lshlrev_b64 v[41:42], 4, v[76:77]
	v_add_co_u32 v36, vcc_lo, v48, v36
	v_mad_u64_u32 v[68:69], null, s3, v43, v[38:39]
	v_mov_b32_e32 v38, v63
	v_add_co_ci_u32_e32 v37, vcc_lo, v49, v37, vcc_lo
	v_lshlrev_b64 v[66:67], 4, v[78:79]
	v_add_co_u32 v41, vcc_lo, v48, v41
	v_mov_b32_e32 v40, v65
	v_mad_u64_u32 v[69:70], null, s3, v70, v[38:39]
	v_add_co_ci_u32_e32 v42, vcc_lo, v49, v42, vcc_lo
	v_add_co_u32 v65, vcc_lo, v48, v66
	v_mad_u64_u32 v[70:71], null, s3, v72, v[40:41]
	v_mov_b32_e32 v40, v68
	v_add_co_ci_u32_e32 v66, vcc_lo, v49, v67, vcc_lo
	v_add_f64 v[112:113], v[142:143], -v[148:149]
	v_add_f64 v[106:107], v[144:145], -v[150:151]
	;; [unrolled: 1-line block ×3, first 2 shown]
	v_mov_b32_e32 v63, v69
	global_store_dwordx4 v[36:37], v[118:121], off
	global_store_dwordx4 v[41:42], v[114:117], off
	;; [unrolled: 1-line block ×3, first 2 shown]
	v_lshlrev_b64 v[36:37], 4, v[39:40]
	v_add_nc_u32_e32 v60, 0x21c, v72
	v_add_nc_u32_e32 v66, 0x438, v72
	v_mov_b32_e32 v65, v70
	v_lshlrev_b64 v[40:41], 4, v[62:63]
	v_mad_u64_u32 v[38:39], null, s2, v60, 0
	v_add_co_u32 v36, vcc_lo, v48, v36
	v_mad_u64_u32 v[58:59], null, s2, v66, 0
	v_add_co_ci_u32_e32 v37, vcc_lo, v49, v37, vcc_lo
	v_lshlrev_b64 v[42:43], 4, v[64:65]
	v_add_co_u32 v40, vcc_lo, v48, v40
	v_add_co_ci_u32_e32 v41, vcc_lo, v49, v41, vcc_lo
	global_store_dwordx4 v[36:37], v[110:113], off
	v_mad_u64_u32 v[60:61], null, s3, v60, v[39:40]
	v_mov_b32_e32 v39, v59
	v_add_co_u32 v42, vcc_lo, v48, v42
	v_add_co_ci_u32_e32 v43, vcc_lo, v49, v43, vcc_lo
	v_mad_u64_u32 v[61:62], null, s3, v66, v[39:40]
	global_store_dwordx4 v[40:41], v[106:109], off
	global_store_dwordx4 v[42:43], v[54:57], off
	v_add_nc_u32_e32 v57, 0x144, v174
	v_mov_b32_e32 v39, v60
	v_add_nc_u32_e32 v54, 0x654, v72
	v_add_nc_u32_e32 v60, 0x870, v72
	v_mul_hi_u32 v42, 0xf2b9d649, v57
	v_mov_b32_e32 v59, v61
	v_lshlrev_b64 v[36:37], 4, v[38:39]
	v_mad_u64_u32 v[38:39], null, s2, v54, 0
	v_add_nc_u32_e32 v61, 0xa8c, v72
	v_lshlrev_b64 v[40:41], 4, v[58:59]
	v_lshrrev_b32_e32 v59, 9, v42
	v_add_co_u32 v36, vcc_lo, v48, v36
	v_add_co_ci_u32_e32 v37, vcc_lo, v49, v37, vcc_lo
	v_mad_u64_u32 v[54:55], null, s3, v54, v[39:40]
	v_mul_u32_u24_e32 v39, 0x21c, v59
	v_mad_u64_u32 v[42:43], null, s2, v60, 0
	v_add_co_u32 v40, vcc_lo, v48, v40
	v_sub_nc_u32_e32 v62, v57, v39
	v_add_co_ci_u32_e32 v41, vcc_lo, v49, v41, vcc_lo
	v_mad_u64_u32 v[55:56], null, s2, v61, 0
	v_mov_b32_e32 v39, v54
	v_mad_u32_u24 v54, 0xca8, v59, v62
	v_mad_u64_u32 v[57:58], null, s3, v60, v[43:44]
	global_store_dwordx4 v[36:37], v[102:105], off
	global_store_dwordx4 v[40:41], v[98:101], off
	v_lshlrev_b64 v[36:37], 4, v[38:39]
	v_mad_u64_u32 v[39:40], null, s2, v54, 0
	v_mov_b32_e32 v38, v56
	v_mov_b32_e32 v43, v57
	v_add_nc_u32_e32 v59, 0x21c, v54
	v_add_co_u32 v36, vcc_lo, v48, v36
	v_add_co_ci_u32_e32 v37, vcc_lo, v49, v37, vcc_lo
	v_mad_u64_u32 v[56:57], null, s3, v61, v[38:39]
	v_mov_b32_e32 v38, v40
	v_lshlrev_b64 v[40:41], 4, v[42:43]
	v_mad_u64_u32 v[57:58], null, s2, v59, 0
	global_store_dwordx4 v[36:37], v[50:53], off
	v_mad_u64_u32 v[42:43], null, s3, v54, v[38:39]
	v_add_co_u32 v50, vcc_lo, v48, v40
	v_lshlrev_b64 v[36:37], 4, v[55:56]
	v_mov_b32_e32 v38, v58
	v_add_co_ci_u32_e32 v51, vcc_lo, v49, v41, vcc_lo
	v_mov_b32_e32 v40, v42
	v_add_nc_u32_e32 v52, 0x438, v54
	v_add_co_u32 v36, vcc_lo, v48, v36
	v_add_co_ci_u32_e32 v37, vcc_lo, v49, v37, vcc_lo
	v_lshlrev_b64 v[39:40], 4, v[39:40]
	global_store_dwordx4 v[50:51], v[94:97], off
	v_add_nc_u32_e32 v50, 0x1b0, v174
	global_store_dwordx4 v[36:37], v[90:93], off
	v_add_nc_u32_e32 v51, 0x870, v54
	v_mad_u64_u32 v[41:42], null, s3, v59, v[38:39]
	v_mad_u64_u32 v[42:43], null, s2, v52, 0
	v_add_co_u32 v38, vcc_lo, v48, v39
	v_add_co_ci_u32_e32 v39, vcc_lo, v49, v40, vcc_lo
	v_mov_b32_e32 v58, v41
	v_mov_b32_e32 v36, v43
	global_store_dwordx4 v[38:39], v[44:47], off
	v_add_nc_u32_e32 v46, 0x654, v54
	v_lshlrev_b64 v[37:38], 4, v[57:58]
	v_mul_hi_u32 v47, 0xf2b9d649, v50
	v_mad_u64_u32 v[44:45], null, s2, v51, 0
	v_mad_u64_u32 v[39:40], null, s3, v52, v[36:37]
	;; [unrolled: 1-line block ×3, first 2 shown]
	v_add_co_u32 v36, vcc_lo, v48, v37
	v_add_co_ci_u32_e32 v37, vcc_lo, v49, v38, vcc_lo
	v_add_nc_u32_e32 v52, 0xa8c, v54
	v_mov_b32_e32 v43, v39
	v_mov_b32_e32 v38, v41
	v_lshrrev_b32_e32 v53, 9, v47
	global_store_dwordx4 v[36:37], v[86:89], off
	v_mov_b32_e32 v36, v45
	v_lshlrev_b64 v[42:43], 4, v[42:43]
	v_mad_u64_u32 v[38:39], null, s3, v46, v[38:39]
	v_mad_u64_u32 v[46:47], null, s2, v52, 0
	v_mul_u32_u24_e32 v39, 0x21c, v53
	v_mad_u64_u32 v[36:37], null, s3, v51, v[36:37]
	v_mov_b32_e32 v41, v38
	v_sub_nc_u32_e32 v45, v50, v39
	v_mov_b32_e32 v37, v47
	v_add_co_u32 v38, vcc_lo, v48, v42
	v_add_co_ci_u32_e32 v39, vcc_lo, v49, v43, vcc_lo
	v_mad_u32_u24 v53, 0xca8, v53, v45
	v_lshlrev_b64 v[40:41], 4, v[40:41]
	v_mad_u64_u32 v[42:43], null, s3, v52, v[37:38]
	v_mov_b32_e32 v45, v36
	v_mad_u64_u32 v[50:51], null, s2, v53, 0
	v_add_co_u32 v36, vcc_lo, v48, v40
	v_add_co_ci_u32_e32 v37, vcc_lo, v49, v41, vcc_lo
	v_mov_b32_e32 v47, v42
	global_store_dwordx4 v[38:39], v[82:85], off
	v_lshlrev_b64 v[39:40], 4, v[44:45]
	v_mov_b32_e32 v38, v51
	global_store_dwordx4 v[36:37], v[24:27], off
	v_lshlrev_b64 v[24:25], 4, v[46:47]
	v_add_co_u32 v36, vcc_lo, v48, v39
	v_add_co_ci_u32_e32 v37, vcc_lo, v49, v40, vcc_lo
	v_mad_u64_u32 v[26:27], null, s3, v53, v[38:39]
	v_add_co_u32 v24, vcc_lo, v48, v24
	v_add_nc_u32_e32 v38, 0x21c, v53
	v_add_co_ci_u32_e32 v25, vcc_lo, v49, v25, vcc_lo
	global_store_dwordx4 v[36:37], v[32:35], off
	v_add_nc_u32_e32 v34, 0x438, v53
	v_add_nc_u32_e32 v36, 0x654, v53
	v_mov_b32_e32 v51, v26
	v_mad_u64_u32 v[26:27], null, s2, v38, 0
	global_store_dwordx4 v[24:25], v[28:31], off
	v_mad_u64_u32 v[28:29], null, s2, v34, 0
	v_mad_u64_u32 v[30:31], null, s2, v36, 0
	v_lshlrev_b64 v[24:25], 4, v[50:51]
	v_add_nc_u32_e32 v39, 0x870, v53
	v_add_nc_u32_e32 v40, 0xa8c, v53
	v_mad_u64_u32 v[32:33], null, s3, v38, v[27:28]
	v_mov_b32_e32 v27, v31
	v_mad_u64_u32 v[33:34], null, s3, v34, v[29:30]
	v_add_co_u32 v24, vcc_lo, v48, v24
	v_mad_u64_u32 v[34:35], null, s2, v39, 0
	v_add_co_ci_u32_e32 v25, vcc_lo, v49, v25, vcc_lo
	v_mad_u64_u32 v[36:37], null, s3, v36, v[27:28]
	v_mov_b32_e32 v27, v32
	v_mad_u64_u32 v[37:38], null, s2, v40, 0
	global_store_dwordx4 v[24:25], v[4:7], off
	v_mov_b32_e32 v4, v35
	v_lshlrev_b64 v[5:6], 4, v[26:27]
	v_mov_b32_e32 v29, v33
	v_mov_b32_e32 v31, v36
	v_mad_u64_u32 v[24:25], null, s3, v39, v[4:5]
	v_mov_b32_e32 v4, v38
	v_add_co_u32 v5, vcc_lo, v48, v5
	v_lshlrev_b64 v[25:26], 4, v[28:29]
	v_add_co_ci_u32_e32 v6, vcc_lo, v49, v6, vcc_lo
	v_mad_u64_u32 v[27:28], null, s3, v40, v[4:5]
	v_lshlrev_b64 v[28:29], 4, v[30:31]
	v_mov_b32_e32 v35, v24
	v_add_co_u32 v24, vcc_lo, v48, v25
	v_add_co_ci_u32_e32 v25, vcc_lo, v49, v26, vcc_lo
	v_mov_b32_e32 v38, v27
	v_lshlrev_b64 v[30:31], 4, v[34:35]
	v_add_co_u32 v26, vcc_lo, v48, v28
	v_add_co_ci_u32_e32 v27, vcc_lo, v49, v29, vcc_lo
	v_lshlrev_b64 v[28:29], 4, v[37:38]
	v_add_co_u32 v30, vcc_lo, v48, v30
	v_add_co_ci_u32_e32 v31, vcc_lo, v49, v31, vcc_lo
	v_add_co_u32 v28, vcc_lo, v48, v28
	v_add_co_ci_u32_e32 v29, vcc_lo, v49, v29, vcc_lo
	global_store_dwordx4 v[5:6], v[20:23], off
	global_store_dwordx4 v[24:25], v[16:19], off
	;; [unrolled: 1-line block ×5, first 2 shown]
.LBB0_15:
	s_endpgm
	.section	.rodata,"a",@progbits
	.p2align	6, 0x0
	.amdhsa_kernel fft_rtc_fwd_len3240_factors_3_3_10_6_6_wgs_108_tpt_108_halfLds_dp_op_CI_CI_sbrr_dirReg
		.amdhsa_group_segment_fixed_size 0
		.amdhsa_private_segment_fixed_size 0
		.amdhsa_kernarg_size 104
		.amdhsa_user_sgpr_count 6
		.amdhsa_user_sgpr_private_segment_buffer 1
		.amdhsa_user_sgpr_dispatch_ptr 0
		.amdhsa_user_sgpr_queue_ptr 0
		.amdhsa_user_sgpr_kernarg_segment_ptr 1
		.amdhsa_user_sgpr_dispatch_id 0
		.amdhsa_user_sgpr_flat_scratch_init 0
		.amdhsa_user_sgpr_private_segment_size 0
		.amdhsa_wavefront_size32 1
		.amdhsa_uses_dynamic_stack 0
		.amdhsa_system_sgpr_private_segment_wavefront_offset 0
		.amdhsa_system_sgpr_workgroup_id_x 1
		.amdhsa_system_sgpr_workgroup_id_y 0
		.amdhsa_system_sgpr_workgroup_id_z 0
		.amdhsa_system_sgpr_workgroup_info 0
		.amdhsa_system_vgpr_workitem_id 0
		.amdhsa_next_free_vgpr 250
		.amdhsa_next_free_sgpr 31
		.amdhsa_reserve_vcc 1
		.amdhsa_reserve_flat_scratch 0
		.amdhsa_float_round_mode_32 0
		.amdhsa_float_round_mode_16_64 0
		.amdhsa_float_denorm_mode_32 3
		.amdhsa_float_denorm_mode_16_64 3
		.amdhsa_dx10_clamp 1
		.amdhsa_ieee_mode 1
		.amdhsa_fp16_overflow 0
		.amdhsa_workgroup_processor_mode 1
		.amdhsa_memory_ordered 1
		.amdhsa_forward_progress 0
		.amdhsa_shared_vgpr_count 0
		.amdhsa_exception_fp_ieee_invalid_op 0
		.amdhsa_exception_fp_denorm_src 0
		.amdhsa_exception_fp_ieee_div_zero 0
		.amdhsa_exception_fp_ieee_overflow 0
		.amdhsa_exception_fp_ieee_underflow 0
		.amdhsa_exception_fp_ieee_inexact 0
		.amdhsa_exception_int_div_zero 0
	.end_amdhsa_kernel
	.text
.Lfunc_end0:
	.size	fft_rtc_fwd_len3240_factors_3_3_10_6_6_wgs_108_tpt_108_halfLds_dp_op_CI_CI_sbrr_dirReg, .Lfunc_end0-fft_rtc_fwd_len3240_factors_3_3_10_6_6_wgs_108_tpt_108_halfLds_dp_op_CI_CI_sbrr_dirReg
                                        ; -- End function
	.section	.AMDGPU.csdata,"",@progbits
; Kernel info:
; codeLenInByte = 23924
; NumSgprs: 33
; NumVgprs: 250
; ScratchSize: 0
; MemoryBound: 1
; FloatMode: 240
; IeeeMode: 1
; LDSByteSize: 0 bytes/workgroup (compile time only)
; SGPRBlocks: 4
; VGPRBlocks: 31
; NumSGPRsForWavesPerEU: 33
; NumVGPRsForWavesPerEU: 250
; Occupancy: 4
; WaveLimiterHint : 1
; COMPUTE_PGM_RSRC2:SCRATCH_EN: 0
; COMPUTE_PGM_RSRC2:USER_SGPR: 6
; COMPUTE_PGM_RSRC2:TRAP_HANDLER: 0
; COMPUTE_PGM_RSRC2:TGID_X_EN: 1
; COMPUTE_PGM_RSRC2:TGID_Y_EN: 0
; COMPUTE_PGM_RSRC2:TGID_Z_EN: 0
; COMPUTE_PGM_RSRC2:TIDIG_COMP_CNT: 0
	.text
	.p2alignl 6, 3214868480
	.fill 48, 4, 3214868480
	.type	__hip_cuid_5990c3a45ee273a5,@object ; @__hip_cuid_5990c3a45ee273a5
	.section	.bss,"aw",@nobits
	.globl	__hip_cuid_5990c3a45ee273a5
__hip_cuid_5990c3a45ee273a5:
	.byte	0                               ; 0x0
	.size	__hip_cuid_5990c3a45ee273a5, 1

	.ident	"AMD clang version 19.0.0git (https://github.com/RadeonOpenCompute/llvm-project roc-6.4.0 25133 c7fe45cf4b819c5991fe208aaa96edf142730f1d)"
	.section	".note.GNU-stack","",@progbits
	.addrsig
	.addrsig_sym __hip_cuid_5990c3a45ee273a5
	.amdgpu_metadata
---
amdhsa.kernels:
  - .args:
      - .actual_access:  read_only
        .address_space:  global
        .offset:         0
        .size:           8
        .value_kind:     global_buffer
      - .offset:         8
        .size:           8
        .value_kind:     by_value
      - .actual_access:  read_only
        .address_space:  global
        .offset:         16
        .size:           8
        .value_kind:     global_buffer
      - .actual_access:  read_only
        .address_space:  global
        .offset:         24
        .size:           8
        .value_kind:     global_buffer
      - .actual_access:  read_only
        .address_space:  global
        .offset:         32
        .size:           8
        .value_kind:     global_buffer
      - .offset:         40
        .size:           8
        .value_kind:     by_value
      - .actual_access:  read_only
        .address_space:  global
        .offset:         48
        .size:           8
        .value_kind:     global_buffer
      - .actual_access:  read_only
        .address_space:  global
        .offset:         56
        .size:           8
        .value_kind:     global_buffer
      - .offset:         64
        .size:           4
        .value_kind:     by_value
      - .actual_access:  read_only
        .address_space:  global
        .offset:         72
        .size:           8
        .value_kind:     global_buffer
      - .actual_access:  read_only
        .address_space:  global
        .offset:         80
        .size:           8
        .value_kind:     global_buffer
      - .actual_access:  read_only
        .address_space:  global
        .offset:         88
        .size:           8
        .value_kind:     global_buffer
      - .actual_access:  write_only
        .address_space:  global
        .offset:         96
        .size:           8
        .value_kind:     global_buffer
    .group_segment_fixed_size: 0
    .kernarg_segment_align: 8
    .kernarg_segment_size: 104
    .language:       OpenCL C
    .language_version:
      - 2
      - 0
    .max_flat_workgroup_size: 108
    .name:           fft_rtc_fwd_len3240_factors_3_3_10_6_6_wgs_108_tpt_108_halfLds_dp_op_CI_CI_sbrr_dirReg
    .private_segment_fixed_size: 0
    .sgpr_count:     33
    .sgpr_spill_count: 0
    .symbol:         fft_rtc_fwd_len3240_factors_3_3_10_6_6_wgs_108_tpt_108_halfLds_dp_op_CI_CI_sbrr_dirReg.kd
    .uniform_work_group_size: 1
    .uses_dynamic_stack: false
    .vgpr_count:     250
    .vgpr_spill_count: 0
    .wavefront_size: 32
    .workgroup_processor_mode: 1
amdhsa.target:   amdgcn-amd-amdhsa--gfx1030
amdhsa.version:
  - 1
  - 2
...

	.end_amdgpu_metadata
